;; amdgpu-corpus repo=ROCm/rocFFT kind=compiled arch=gfx1030 opt=O3
	.text
	.amdgcn_target "amdgcn-amd-amdhsa--gfx1030"
	.amdhsa_code_object_version 6
	.protected	fft_rtc_fwd_len2160_factors_10_6_6_6_wgs_60_tpt_60_halfLds_half_ip_CI_unitstride_sbrr_C2R_dirReg ; -- Begin function fft_rtc_fwd_len2160_factors_10_6_6_6_wgs_60_tpt_60_halfLds_half_ip_CI_unitstride_sbrr_C2R_dirReg
	.globl	fft_rtc_fwd_len2160_factors_10_6_6_6_wgs_60_tpt_60_halfLds_half_ip_CI_unitstride_sbrr_C2R_dirReg
	.p2align	8
	.type	fft_rtc_fwd_len2160_factors_10_6_6_6_wgs_60_tpt_60_halfLds_half_ip_CI_unitstride_sbrr_C2R_dirReg,@function
fft_rtc_fwd_len2160_factors_10_6_6_6_wgs_60_tpt_60_halfLds_half_ip_CI_unitstride_sbrr_C2R_dirReg: ; @fft_rtc_fwd_len2160_factors_10_6_6_6_wgs_60_tpt_60_halfLds_half_ip_CI_unitstride_sbrr_C2R_dirReg
; %bb.0:
	s_clause 0x2
	s_load_dwordx4 s[8:11], s[4:5], 0x0
	s_load_dwordx2 s[2:3], s[4:5], 0x50
	s_load_dwordx2 s[12:13], s[4:5], 0x18
	v_mul_u32_u24_e32 v1, 0x445, v0
	v_mov_b32_e32 v3, 0
	v_add_nc_u32_sdwa v5, s6, v1 dst_sel:DWORD dst_unused:UNUSED_PAD src0_sel:DWORD src1_sel:WORD_1
	v_mov_b32_e32 v1, 0
	v_mov_b32_e32 v6, v3
	v_mov_b32_e32 v2, 0
	s_waitcnt lgkmcnt(0)
	v_cmp_lt_u64_e64 s0, s[10:11], 2
	s_and_b32 vcc_lo, exec_lo, s0
	s_cbranch_vccnz .LBB0_8
; %bb.1:
	s_load_dwordx2 s[0:1], s[4:5], 0x10
	v_mov_b32_e32 v1, 0
	s_add_u32 s6, s12, 8
	v_mov_b32_e32 v2, 0
	s_addc_u32 s7, s13, 0
	s_mov_b64 s[16:17], 1
	s_waitcnt lgkmcnt(0)
	s_add_u32 s14, s0, 8
	s_addc_u32 s15, s1, 0
.LBB0_2:                                ; =>This Inner Loop Header: Depth=1
	s_load_dwordx2 s[18:19], s[14:15], 0x0
                                        ; implicit-def: $vgpr7_vgpr8
	s_mov_b32 s0, exec_lo
	s_waitcnt lgkmcnt(0)
	v_or_b32_e32 v4, s19, v6
	v_cmpx_ne_u64_e32 0, v[3:4]
	s_xor_b32 s1, exec_lo, s0
	s_cbranch_execz .LBB0_4
; %bb.3:                                ;   in Loop: Header=BB0_2 Depth=1
	v_cvt_f32_u32_e32 v4, s18
	v_cvt_f32_u32_e32 v7, s19
	s_sub_u32 s0, 0, s18
	s_subb_u32 s20, 0, s19
	v_fmac_f32_e32 v4, 0x4f800000, v7
	v_rcp_f32_e32 v4, v4
	v_mul_f32_e32 v4, 0x5f7ffffc, v4
	v_mul_f32_e32 v7, 0x2f800000, v4
	v_trunc_f32_e32 v7, v7
	v_fmac_f32_e32 v4, 0xcf800000, v7
	v_cvt_u32_f32_e32 v7, v7
	v_cvt_u32_f32_e32 v4, v4
	v_mul_lo_u32 v8, s0, v7
	v_mul_hi_u32 v9, s0, v4
	v_mul_lo_u32 v10, s20, v4
	v_add_nc_u32_e32 v8, v9, v8
	v_mul_lo_u32 v9, s0, v4
	v_add_nc_u32_e32 v8, v8, v10
	v_mul_hi_u32 v10, v4, v9
	v_mul_lo_u32 v11, v4, v8
	v_mul_hi_u32 v12, v4, v8
	v_mul_hi_u32 v13, v7, v9
	v_mul_lo_u32 v9, v7, v9
	v_mul_hi_u32 v14, v7, v8
	v_mul_lo_u32 v8, v7, v8
	v_add_co_u32 v10, vcc_lo, v10, v11
	v_add_co_ci_u32_e32 v11, vcc_lo, 0, v12, vcc_lo
	v_add_co_u32 v9, vcc_lo, v10, v9
	v_add_co_ci_u32_e32 v9, vcc_lo, v11, v13, vcc_lo
	v_add_co_ci_u32_e32 v10, vcc_lo, 0, v14, vcc_lo
	v_add_co_u32 v8, vcc_lo, v9, v8
	v_add_co_ci_u32_e32 v9, vcc_lo, 0, v10, vcc_lo
	v_add_co_u32 v4, vcc_lo, v4, v8
	v_add_co_ci_u32_e32 v7, vcc_lo, v7, v9, vcc_lo
	v_mul_hi_u32 v8, s0, v4
	v_mul_lo_u32 v10, s20, v4
	v_mul_lo_u32 v9, s0, v7
	v_add_nc_u32_e32 v8, v8, v9
	v_mul_lo_u32 v9, s0, v4
	v_add_nc_u32_e32 v8, v8, v10
	v_mul_hi_u32 v10, v4, v9
	v_mul_lo_u32 v11, v4, v8
	v_mul_hi_u32 v12, v4, v8
	v_mul_hi_u32 v13, v7, v9
	v_mul_lo_u32 v9, v7, v9
	v_mul_hi_u32 v14, v7, v8
	v_mul_lo_u32 v8, v7, v8
	v_add_co_u32 v10, vcc_lo, v10, v11
	v_add_co_ci_u32_e32 v11, vcc_lo, 0, v12, vcc_lo
	v_add_co_u32 v9, vcc_lo, v10, v9
	v_add_co_ci_u32_e32 v9, vcc_lo, v11, v13, vcc_lo
	v_add_co_ci_u32_e32 v10, vcc_lo, 0, v14, vcc_lo
	v_add_co_u32 v8, vcc_lo, v9, v8
	v_add_co_ci_u32_e32 v9, vcc_lo, 0, v10, vcc_lo
	v_add_co_u32 v4, vcc_lo, v4, v8
	v_add_co_ci_u32_e32 v11, vcc_lo, v7, v9, vcc_lo
	v_mul_hi_u32 v13, v5, v4
	v_mad_u64_u32 v[9:10], null, v6, v4, 0
	v_mad_u64_u32 v[7:8], null, v5, v11, 0
	;; [unrolled: 1-line block ×3, first 2 shown]
	v_add_co_u32 v4, vcc_lo, v13, v7
	v_add_co_ci_u32_e32 v7, vcc_lo, 0, v8, vcc_lo
	v_add_co_u32 v4, vcc_lo, v4, v9
	v_add_co_ci_u32_e32 v4, vcc_lo, v7, v10, vcc_lo
	v_add_co_ci_u32_e32 v7, vcc_lo, 0, v12, vcc_lo
	v_add_co_u32 v4, vcc_lo, v4, v11
	v_add_co_ci_u32_e32 v9, vcc_lo, 0, v7, vcc_lo
	v_mul_lo_u32 v10, s19, v4
	v_mad_u64_u32 v[7:8], null, s18, v4, 0
	v_mul_lo_u32 v11, s18, v9
	v_sub_co_u32 v7, vcc_lo, v5, v7
	v_add3_u32 v8, v8, v11, v10
	v_sub_nc_u32_e32 v10, v6, v8
	v_subrev_co_ci_u32_e64 v10, s0, s19, v10, vcc_lo
	v_add_co_u32 v11, s0, v4, 2
	v_add_co_ci_u32_e64 v12, s0, 0, v9, s0
	v_sub_co_u32 v13, s0, v7, s18
	v_sub_co_ci_u32_e32 v8, vcc_lo, v6, v8, vcc_lo
	v_subrev_co_ci_u32_e64 v10, s0, 0, v10, s0
	v_cmp_le_u32_e32 vcc_lo, s18, v13
	v_cmp_eq_u32_e64 s0, s19, v8
	v_cndmask_b32_e64 v13, 0, -1, vcc_lo
	v_cmp_le_u32_e32 vcc_lo, s19, v10
	v_cndmask_b32_e64 v14, 0, -1, vcc_lo
	v_cmp_le_u32_e32 vcc_lo, s18, v7
	;; [unrolled: 2-line block ×3, first 2 shown]
	v_cndmask_b32_e64 v15, 0, -1, vcc_lo
	v_cmp_eq_u32_e32 vcc_lo, s19, v10
	v_cndmask_b32_e64 v7, v15, v7, s0
	v_cndmask_b32_e32 v10, v14, v13, vcc_lo
	v_add_co_u32 v13, vcc_lo, v4, 1
	v_add_co_ci_u32_e32 v14, vcc_lo, 0, v9, vcc_lo
	v_cmp_ne_u32_e32 vcc_lo, 0, v10
	v_cndmask_b32_e32 v8, v14, v12, vcc_lo
	v_cndmask_b32_e32 v10, v13, v11, vcc_lo
	v_cmp_ne_u32_e32 vcc_lo, 0, v7
	v_cndmask_b32_e32 v8, v9, v8, vcc_lo
	v_cndmask_b32_e32 v7, v4, v10, vcc_lo
.LBB0_4:                                ;   in Loop: Header=BB0_2 Depth=1
	s_andn2_saveexec_b32 s0, s1
	s_cbranch_execz .LBB0_6
; %bb.5:                                ;   in Loop: Header=BB0_2 Depth=1
	v_cvt_f32_u32_e32 v4, s18
	s_sub_i32 s1, 0, s18
	v_rcp_iflag_f32_e32 v4, v4
	v_mul_f32_e32 v4, 0x4f7ffffe, v4
	v_cvt_u32_f32_e32 v4, v4
	v_mul_lo_u32 v7, s1, v4
	v_mul_hi_u32 v7, v4, v7
	v_add_nc_u32_e32 v4, v4, v7
	v_mul_hi_u32 v4, v5, v4
	v_mul_lo_u32 v7, v4, s18
	v_add_nc_u32_e32 v8, 1, v4
	v_sub_nc_u32_e32 v7, v5, v7
	v_subrev_nc_u32_e32 v9, s18, v7
	v_cmp_le_u32_e32 vcc_lo, s18, v7
	v_cndmask_b32_e32 v7, v7, v9, vcc_lo
	v_cndmask_b32_e32 v4, v4, v8, vcc_lo
	v_cmp_le_u32_e32 vcc_lo, s18, v7
	v_add_nc_u32_e32 v8, 1, v4
	v_cndmask_b32_e32 v7, v4, v8, vcc_lo
	v_mov_b32_e32 v8, v3
.LBB0_6:                                ;   in Loop: Header=BB0_2 Depth=1
	s_or_b32 exec_lo, exec_lo, s0
	s_load_dwordx2 s[0:1], s[6:7], 0x0
	v_mul_lo_u32 v4, v8, s18
	v_mul_lo_u32 v11, v7, s19
	v_mad_u64_u32 v[9:10], null, v7, s18, 0
	s_add_u32 s16, s16, 1
	s_addc_u32 s17, s17, 0
	s_add_u32 s6, s6, 8
	s_addc_u32 s7, s7, 0
	;; [unrolled: 2-line block ×3, first 2 shown]
	v_add3_u32 v4, v10, v11, v4
	v_sub_co_u32 v5, vcc_lo, v5, v9
	v_sub_co_ci_u32_e32 v4, vcc_lo, v6, v4, vcc_lo
	s_waitcnt lgkmcnt(0)
	v_mul_lo_u32 v6, s1, v5
	v_mul_lo_u32 v4, s0, v4
	v_mad_u64_u32 v[1:2], null, s0, v5, v[1:2]
	v_cmp_ge_u64_e64 s0, s[16:17], s[10:11]
	s_and_b32 vcc_lo, exec_lo, s0
	v_add3_u32 v2, v6, v2, v4
	s_cbranch_vccnz .LBB0_9
; %bb.7:                                ;   in Loop: Header=BB0_2 Depth=1
	v_mov_b32_e32 v5, v7
	v_mov_b32_e32 v6, v8
	s_branch .LBB0_2
.LBB0_8:
	v_mov_b32_e32 v8, v6
	v_mov_b32_e32 v7, v5
.LBB0_9:
	s_lshl_b64 s[0:1], s[10:11], 3
	v_mul_hi_u32 v5, 0x4444445, v0
	s_add_u32 s0, s12, s0
	s_addc_u32 s1, s13, s1
	s_load_dwordx2 s[0:1], s[0:1], 0x0
	s_load_dwordx2 s[4:5], s[4:5], 0x20
	s_waitcnt lgkmcnt(0)
	v_mul_lo_u32 v3, s0, v8
	v_mul_lo_u32 v4, s1, v7
	v_mad_u64_u32 v[1:2], null, s0, v7, v[1:2]
	v_cmp_gt_u64_e32 vcc_lo, s[4:5], v[7:8]
	v_add3_u32 v2, v4, v2, v3
	v_mul_u32_u24_e32 v4, 60, v5
	v_lshlrev_b64 v[2:3], 2, v[1:2]
	v_sub_nc_u32_e32 v0, v0, v4
	s_and_saveexec_b32 s1, vcc_lo
	s_cbranch_execz .LBB0_13
; %bb.10:
	v_mov_b32_e32 v1, 0
	v_add_co_u32 v4, s0, s2, v2
	v_add_co_ci_u32_e64 v5, s0, s3, v3, s0
	v_lshlrev_b64 v[6:7], 2, v[0:1]
	v_or_b32_e32 v10, 0x3c0, v0
	v_mov_b32_e32 v11, v1
	v_or_b32_e32 v14, 0x780, v0
	v_mov_b32_e32 v15, v1
	v_add_co_u32 v6, s0, v4, v6
	v_add_co_ci_u32_e64 v7, s0, v5, v7, s0
	v_lshlrev_b64 v[10:11], 2, v[10:11]
	v_add_co_u32 v8, s0, 0x800, v6
	v_add_co_ci_u32_e64 v9, s0, 0, v7, s0
	v_add_co_u32 v12, s0, 0x1000, v6
	v_add_co_ci_u32_e64 v13, s0, 0, v7, s0
	v_add_co_u32 v10, s0, v4, v10
	s_clause 0xf
	global_load_dword v16, v[6:7], off
	global_load_dword v17, v[6:7], off offset:240
	global_load_dword v18, v[6:7], off offset:480
	;; [unrolled: 1-line block ×15, first 2 shown]
	v_add_co_ci_u32_e64 v11, s0, v5, v11, s0
	s_clause 0x7
	global_load_dword v32, v[12:13], off offset:224
	global_load_dword v33, v[12:13], off offset:464
	;; [unrolled: 1-line block ×6, first 2 shown]
	global_load_dword v38, v[10:11], off
	global_load_dword v39, v[8:9], off offset:2032
	v_lshlrev_b64 v[8:9], 2, v[14:15]
	v_add_co_u32 v10, s0, 0x1800, v6
	v_add_co_ci_u32_e64 v11, s0, 0, v7, s0
	v_add_co_u32 v8, s0, v4, v8
	v_add_co_ci_u32_e64 v9, s0, v5, v9, s0
	;; [unrolled: 2-line block ×3, first 2 shown]
	s_clause 0xb
	global_load_dword v14, v[12:13], off offset:1664
	global_load_dword v12, v[12:13], off offset:1904
	;; [unrolled: 1-line block ×10, first 2 shown]
	global_load_dword v7, v[8:9], off
	global_load_dword v8, v[10:11], off offset:2016
	v_lshl_add_u32 v9, v0, 2, 0
	v_cmp_eq_u32_e64 s0, 59, v0
	v_add_nc_u32_e32 v10, 0x200, v9
	v_add_nc_u32_e32 v11, 0x400, v9
	;; [unrolled: 1-line block ×11, first 2 shown]
	s_waitcnt vmcnt(34)
	ds_write2_b32 v9, v16, v17 offset1:60
	s_waitcnt vmcnt(32)
	ds_write2_b32 v9, v18, v19 offset0:120 offset1:180
	s_waitcnt vmcnt(30)
	ds_write2_b32 v10, v20, v21 offset0:112 offset1:172
	;; [unrolled: 2-line block ×8, first 2 shown]
	ds_write2_b32 v49, v32, v33 offset0:56 offset1:116
	ds_write2_b32 v49, v34, v35 offset0:176 offset1:236
	;; [unrolled: 1-line block ×3, first 2 shown]
	s_waitcnt vmcnt(10)
	ds_write2_b32 v50, v14, v12 offset0:160 offset1:220
	s_waitcnt vmcnt(8)
	ds_write2_b32 v51, v13, v15 offset0:24 offset1:84
	;; [unrolled: 2-line block ×6, first 2 shown]
	s_and_saveexec_b32 s4, s0
	s_cbranch_execz .LBB0_12
; %bb.11:
	v_add_co_u32 v4, s0, 0x2000, v4
	v_add_co_ci_u32_e64 v5, s0, 0, v5, s0
	v_mov_b32_e32 v0, 59
	global_load_dword v4, v[4:5], off offset:448
	s_waitcnt vmcnt(0)
	ds_write_b32 v1, v4 offset:8640
.LBB0_12:
	s_or_b32 exec_lo, exec_lo, s4
.LBB0_13:
	s_or_b32 exec_lo, exec_lo, s1
	v_lshlrev_b32_e32 v1, 2, v0
	s_waitcnt lgkmcnt(0)
	s_barrier
	buffer_gl0_inv
	s_add_u32 s1, s8, 0x2198
	v_add_nc_u32_e32 v32, 0, v1
	v_sub_nc_u32_e32 v6, 0, v1
	s_addc_u32 s4, s9, 0
	s_mov_b32 s5, exec_lo
                                        ; implicit-def: $vgpr4_vgpr5
	ds_read_u16 v9, v32
	ds_read_u16 v10, v6 offset:8640
	s_waitcnt lgkmcnt(0)
	v_add_f16_e32 v8, v10, v9
	v_sub_f16_e32 v7, v9, v10
	v_cmpx_ne_u32_e32 0, v0
	s_xor_b32 s5, exec_lo, s5
	s_cbranch_execz .LBB0_15
; %bb.14:
	v_mov_b32_e32 v1, 0
	v_add_f16_e32 v8, v10, v9
	v_sub_f16_e32 v9, v9, v10
	v_lshlrev_b64 v[4:5], 2, v[0:1]
	v_add_co_u32 v4, s0, s1, v4
	v_add_co_ci_u32_e64 v5, s0, s4, v5, s0
	global_load_dword v4, v[4:5], off
	ds_read_u16 v5, v6 offset:8642
	ds_read_u16 v7, v32 offset:2
	s_waitcnt lgkmcnt(0)
	v_add_f16_e32 v10, v5, v7
	v_sub_f16_e32 v5, v7, v5
	s_waitcnt vmcnt(0)
	v_lshrrev_b32_e32 v11, 16, v4
	v_fma_f16 v12, -v9, v11, v8
	v_fma_f16 v13, v10, v11, -v5
	v_fma_f16 v7, v10, v11, v5
	v_fma_f16 v8, v9, v11, v8
	v_fmac_f16_e32 v12, v4, v10
	v_fmac_f16_e32 v13, v9, v4
	;; [unrolled: 1-line block ×3, first 2 shown]
	v_fma_f16 v8, -v4, v10, v8
	v_mov_b32_e32 v5, v1
	v_mov_b32_e32 v4, v0
	v_pack_b32_f16 v9, v12, v13
	ds_write_b32 v6, v9 offset:8640
.LBB0_15:
	s_andn2_saveexec_b32 s0, s5
	s_cbranch_execz .LBB0_17
; %bb.16:
	v_mov_b32_e32 v1, 0
	ds_read_b32 v4, v1 offset:4320
	s_waitcnt lgkmcnt(0)
	v_pk_mul_f16 v9, 0xc0004000, v4
	v_mov_b32_e32 v4, 0
	v_mov_b32_e32 v5, 0
	ds_write_b32 v1, v9 offset:4320
.LBB0_17:
	s_or_b32 exec_lo, exec_lo, s0
	v_lshlrev_b64 v[4:5], 2, v[4:5]
	v_perm_b32 v7, v7, v8, 0x5040100
	v_add_nc_u32_e32 v35, 0x400, v32
	v_add_nc_u32_e32 v33, 0x1400, v32
	;; [unrolled: 1-line block ×4, first 2 shown]
	v_add_co_u32 v4, s0, s1, v4
	v_add_co_ci_u32_e64 v5, s0, s4, v5, s0
	v_add_nc_u32_e32 v37, 0x200, v32
	v_add_nc_u32_e32 v36, 0x800, v32
	;; [unrolled: 1-line block ×3, first 2 shown]
	s_clause 0x6
	global_load_dword v1, v[4:5], off offset:240
	global_load_dword v9, v[4:5], off offset:480
	;; [unrolled: 1-line block ×7, first 2 shown]
	ds_write_b32 v32, v7
	ds_read_b32 v7, v32 offset:240
	ds_read_b32 v8, v6 offset:8400
	global_load_dword v15, v[4:5], off offset:1920
	v_add_co_u32 v4, s0, 0x800, v4
	v_add_co_ci_u32_e64 v5, s0, 0, v5, s0
	s_waitcnt lgkmcnt(0)
	v_add_f16_e32 v16, v7, v8
	v_add_f16_sdwa v17, v8, v7 dst_sel:DWORD dst_unused:UNUSED_PAD src0_sel:WORD_1 src1_sel:WORD_1
	v_sub_f16_e32 v18, v7, v8
	v_sub_f16_sdwa v7, v7, v8 dst_sel:DWORD dst_unused:UNUSED_PAD src0_sel:WORD_1 src1_sel:WORD_1
	s_waitcnt vmcnt(7)
	v_lshrrev_b32_e32 v19, 16, v1
	v_fma_f16 v8, v18, v19, v16
	v_fma_f16 v20, v17, v19, v7
	v_fma_f16 v16, -v18, v19, v16
	v_fma_f16 v7, v17, v19, -v7
	v_fma_f16 v8, -v1, v17, v8
	v_fmac_f16_e32 v20, v18, v1
	v_fmac_f16_e32 v16, v1, v17
	;; [unrolled: 1-line block ×3, first 2 shown]
	v_pack_b32_f16 v1, v8, v20
	s_waitcnt vmcnt(6)
	v_lshrrev_b32_e32 v8, 16, v9
	v_pack_b32_f16 v7, v16, v7
	ds_write_b32 v32, v1 offset:240
	ds_write_b32 v6, v7 offset:8400
	ds_read_b32 v1, v32 offset:480
	ds_read_b32 v7, v6 offset:8160
	global_load_dword v19, v[4:5], off offset:112
	s_waitcnt lgkmcnt(0)
	v_add_f16_e32 v16, v1, v7
	v_add_f16_sdwa v17, v7, v1 dst_sel:DWORD dst_unused:UNUSED_PAD src0_sel:WORD_1 src1_sel:WORD_1
	v_sub_f16_e32 v18, v1, v7
	v_sub_f16_sdwa v1, v1, v7 dst_sel:DWORD dst_unused:UNUSED_PAD src0_sel:WORD_1 src1_sel:WORD_1
	v_fma_f16 v7, v18, v8, v16
	v_fma_f16 v20, v17, v8, v1
	v_fma_f16 v16, -v18, v8, v16
	v_fma_f16 v1, v17, v8, -v1
	s_waitcnt vmcnt(6)
	v_lshrrev_b32_e32 v8, 16, v10
	v_fma_f16 v7, -v9, v17, v7
	v_fmac_f16_e32 v20, v18, v9
	v_fmac_f16_e32 v16, v9, v17
	v_fmac_f16_e32 v1, v18, v9
	v_pack_b32_f16 v7, v7, v20
	v_pack_b32_f16 v1, v16, v1
	ds_write_b32 v32, v7 offset:480
	ds_write_b32 v6, v1 offset:8160
	ds_read_b32 v1, v32 offset:720
	ds_read_b32 v7, v6 offset:7920
	global_load_dword v18, v[4:5], off offset:352
	s_waitcnt lgkmcnt(0)
	v_add_f16_e32 v9, v1, v7
	v_add_f16_sdwa v16, v7, v1 dst_sel:DWORD dst_unused:UNUSED_PAD src0_sel:WORD_1 src1_sel:WORD_1
	v_sub_f16_e32 v17, v1, v7
	v_sub_f16_sdwa v1, v1, v7 dst_sel:DWORD dst_unused:UNUSED_PAD src0_sel:WORD_1 src1_sel:WORD_1
	v_fma_f16 v7, v17, v8, v9
	v_fma_f16 v20, v16, v8, v1
	v_fma_f16 v9, -v17, v8, v9
	v_fma_f16 v1, v16, v8, -v1
	s_waitcnt vmcnt(6)
	v_lshrrev_b32_e32 v8, 16, v11
	v_fma_f16 v7, -v10, v16, v7
	v_fmac_f16_e32 v20, v17, v10
	v_fmac_f16_e32 v9, v10, v16
	v_fmac_f16_e32 v1, v17, v10
	v_pack_b32_f16 v7, v7, v20
	v_pack_b32_f16 v1, v9, v1
	ds_write_b32 v32, v7 offset:720
	ds_write_b32 v6, v1 offset:7920
	ds_read_b32 v1, v32 offset:960
	ds_read_b32 v7, v6 offset:7680
	global_load_dword v17, v[4:5], off offset:592
	s_waitcnt lgkmcnt(0)
	v_add_f16_e32 v9, v1, v7
	v_add_f16_sdwa v10, v7, v1 dst_sel:DWORD dst_unused:UNUSED_PAD src0_sel:WORD_1 src1_sel:WORD_1
	v_sub_f16_e32 v16, v1, v7
	v_sub_f16_sdwa v1, v1, v7 dst_sel:DWORD dst_unused:UNUSED_PAD src0_sel:WORD_1 src1_sel:WORD_1
	v_fma_f16 v7, v16, v8, v9
	v_fma_f16 v20, v10, v8, v1
	v_fma_f16 v9, -v16, v8, v9
	v_fma_f16 v1, v10, v8, -v1
	s_waitcnt vmcnt(6)
	v_lshrrev_b32_e32 v8, 16, v12
	v_fma_f16 v7, -v11, v10, v7
	v_fmac_f16_e32 v20, v16, v11
	v_fmac_f16_e32 v9, v11, v10
	v_fmac_f16_e32 v1, v16, v11
	v_pack_b32_f16 v7, v7, v20
	v_pack_b32_f16 v1, v9, v1
	ds_write_b32 v32, v7 offset:960
	ds_write_b32 v6, v1 offset:7680
	ds_read_b32 v1, v32 offset:1200
	ds_read_b32 v7, v6 offset:7440
	global_load_dword v16, v[4:5], off offset:832
	s_waitcnt lgkmcnt(0)
	v_add_f16_e32 v9, v1, v7
	v_add_f16_sdwa v10, v7, v1 dst_sel:DWORD dst_unused:UNUSED_PAD src0_sel:WORD_1 src1_sel:WORD_1
	v_sub_f16_e32 v11, v1, v7
	v_sub_f16_sdwa v1, v1, v7 dst_sel:DWORD dst_unused:UNUSED_PAD src0_sel:WORD_1 src1_sel:WORD_1
	v_fma_f16 v7, v11, v8, v9
	v_fma_f16 v20, v10, v8, v1
	v_fma_f16 v9, -v11, v8, v9
	v_fma_f16 v1, v10, v8, -v1
	s_waitcnt vmcnt(6)
	v_lshrrev_b32_e32 v8, 16, v13
	v_fma_f16 v7, -v12, v10, v7
	v_fmac_f16_e32 v20, v11, v12
	v_fmac_f16_e32 v9, v12, v10
	v_fmac_f16_e32 v1, v11, v12
	v_pack_b32_f16 v7, v7, v20
	v_pack_b32_f16 v1, v9, v1
	ds_write_b32 v32, v7 offset:1200
	ds_write_b32 v6, v1 offset:7440
	ds_read_b32 v1, v32 offset:1440
	ds_read_b32 v7, v6 offset:7200
	global_load_dword v12, v[4:5], off offset:1072
	s_waitcnt lgkmcnt(0)
	v_add_f16_e32 v9, v1, v7
	v_add_f16_sdwa v10, v7, v1 dst_sel:DWORD dst_unused:UNUSED_PAD src0_sel:WORD_1 src1_sel:WORD_1
	v_sub_f16_e32 v11, v1, v7
	v_sub_f16_sdwa v1, v1, v7 dst_sel:DWORD dst_unused:UNUSED_PAD src0_sel:WORD_1 src1_sel:WORD_1
	v_fma_f16 v7, v11, v8, v9
	v_fma_f16 v20, v10, v8, v1
	v_fma_f16 v9, -v11, v8, v9
	v_fma_f16 v1, v10, v8, -v1
	s_waitcnt vmcnt(6)
	v_lshrrev_b32_e32 v8, 16, v14
	v_fma_f16 v7, -v13, v10, v7
	v_fmac_f16_e32 v20, v11, v13
	v_fmac_f16_e32 v9, v13, v10
	v_fmac_f16_e32 v1, v11, v13
	v_pack_b32_f16 v7, v7, v20
	v_pack_b32_f16 v1, v9, v1
	ds_write_b32 v32, v7 offset:1440
	ds_write_b32 v6, v1 offset:7200
	ds_read_b32 v1, v32 offset:1680
	ds_read_b32 v7, v6 offset:6960
	global_load_dword v13, v[4:5], off offset:1312
	s_waitcnt lgkmcnt(0)
	v_add_f16_e32 v9, v1, v7
	v_add_f16_sdwa v10, v7, v1 dst_sel:DWORD dst_unused:UNUSED_PAD src0_sel:WORD_1 src1_sel:WORD_1
	v_sub_f16_e32 v11, v1, v7
	v_sub_f16_sdwa v1, v1, v7 dst_sel:DWORD dst_unused:UNUSED_PAD src0_sel:WORD_1 src1_sel:WORD_1
	v_fma_f16 v7, v11, v8, v9
	v_fma_f16 v20, v10, v8, v1
	v_fma_f16 v9, -v11, v8, v9
	v_fma_f16 v1, v10, v8, -v1
	s_waitcnt vmcnt(6)
	v_lshrrev_b32_e32 v8, 16, v15
	v_fma_f16 v7, -v14, v10, v7
	v_fmac_f16_e32 v20, v11, v14
	v_fmac_f16_e32 v9, v14, v10
	v_fmac_f16_e32 v1, v11, v14
	v_pack_b32_f16 v7, v7, v20
	v_pack_b32_f16 v1, v9, v1
	ds_write_b32 v32, v7 offset:1680
	ds_write_b32 v6, v1 offset:6960
	ds_read_b32 v1, v32 offset:1920
	ds_read_b32 v7, v6 offset:6720
	global_load_dword v14, v[4:5], off offset:1552
	s_waitcnt lgkmcnt(0)
	v_add_f16_e32 v9, v1, v7
	v_add_f16_sdwa v10, v7, v1 dst_sel:DWORD dst_unused:UNUSED_PAD src0_sel:WORD_1 src1_sel:WORD_1
	v_sub_f16_e32 v11, v1, v7
	v_sub_f16_sdwa v1, v1, v7 dst_sel:DWORD dst_unused:UNUSED_PAD src0_sel:WORD_1 src1_sel:WORD_1
	v_fma_f16 v7, v11, v8, v9
	v_fma_f16 v20, v10, v8, v1
	v_fma_f16 v9, -v11, v8, v9
	v_fma_f16 v1, v10, v8, -v1
	v_mov_b32_e32 v8, 0
	v_fma_f16 v7, -v15, v10, v7
	v_fmac_f16_e32 v20, v11, v15
	v_fmac_f16_e32 v9, v15, v10
	;; [unrolled: 1-line block ×3, first 2 shown]
	v_pack_b32_f16 v7, v7, v20
	v_pack_b32_f16 v1, v9, v1
	ds_write_b32 v32, v7 offset:1920
	ds_write_b32 v6, v1 offset:6720
	v_or_b32_e32 v7, 0x3c0, v0
	ds_read_b32 v1, v32 offset:2160
	ds_read_b32 v9, v6 offset:6480
	global_load_dword v4, v[4:5], off offset:2032
	v_lshlrev_b64 v[7:8], 2, v[7:8]
	v_add_co_u32 v7, s0, s1, v7
	v_add_co_ci_u32_e64 v8, s0, s4, v8, s0
	v_cmp_gt_u32_e64 s0, 36, v0
	global_load_dword v7, v[7:8], off
	s_waitcnt vmcnt(8)
	v_lshrrev_b32_e32 v5, 16, v19
	s_waitcnt lgkmcnt(0)
	v_add_f16_e32 v10, v1, v9
	v_add_f16_sdwa v11, v9, v1 dst_sel:DWORD dst_unused:UNUSED_PAD src0_sel:WORD_1 src1_sel:WORD_1
	v_sub_f16_e32 v15, v1, v9
	v_sub_f16_sdwa v1, v1, v9 dst_sel:DWORD dst_unused:UNUSED_PAD src0_sel:WORD_1 src1_sel:WORD_1
	v_fma_f16 v8, v15, v5, v10
	v_fma_f16 v9, v11, v5, v1
	v_fma_f16 v10, -v15, v5, v10
	v_fma_f16 v1, v11, v5, -v1
	v_fma_f16 v5, -v19, v11, v8
	v_fmac_f16_e32 v9, v15, v19
	v_fmac_f16_e32 v10, v19, v11
	v_fmac_f16_e32 v1, v15, v19
	v_pack_b32_f16 v5, v5, v9
	v_pack_b32_f16 v1, v10, v1
	ds_write_b32 v32, v5 offset:2160
	ds_write_b32 v6, v1 offset:6480
	ds_read_b32 v1, v32 offset:2400
	ds_read_b32 v5, v6 offset:6240
	s_waitcnt vmcnt(7)
	v_lshrrev_b32_e32 v8, 16, v18
	s_waitcnt lgkmcnt(0)
	v_add_f16_e32 v9, v1, v5
	v_add_f16_sdwa v10, v5, v1 dst_sel:DWORD dst_unused:UNUSED_PAD src0_sel:WORD_1 src1_sel:WORD_1
	v_sub_f16_e32 v11, v1, v5
	v_sub_f16_sdwa v1, v1, v5 dst_sel:DWORD dst_unused:UNUSED_PAD src0_sel:WORD_1 src1_sel:WORD_1
	v_fma_f16 v5, v11, v8, v9
	v_fma_f16 v15, v10, v8, v1
	v_fma_f16 v9, -v11, v8, v9
	v_fma_f16 v1, v10, v8, -v1
	v_fma_f16 v5, -v18, v10, v5
	v_fmac_f16_e32 v15, v11, v18
	v_fmac_f16_e32 v9, v18, v10
	v_fmac_f16_e32 v1, v11, v18
	v_pack_b32_f16 v5, v5, v15
	v_pack_b32_f16 v1, v9, v1
	ds_write_b32 v32, v5 offset:2400
	ds_write_b32 v6, v1 offset:6240
	ds_read_b32 v1, v32 offset:2640
	ds_read_b32 v5, v6 offset:6000
	;; [unrolled: 21-line block ×7, first 2 shown]
	s_waitcnt lgkmcnt(0)
	v_add_f16_e32 v9, v1, v5
	v_add_f16_sdwa v10, v5, v1 dst_sel:DWORD dst_unused:UNUSED_PAD src0_sel:WORD_1 src1_sel:WORD_1
	s_waitcnt vmcnt(0)
	v_lshrrev_b32_e32 v8, 16, v7
	v_sub_f16_e32 v11, v1, v5
	v_sub_f16_sdwa v1, v1, v5 dst_sel:DWORD dst_unused:UNUSED_PAD src0_sel:WORD_1 src1_sel:WORD_1
	v_fma_f16 v5, v11, v8, v9
	v_fma_f16 v12, v10, v8, v1
	v_fma_f16 v9, -v11, v8, v9
	v_fma_f16 v1, v10, v8, -v1
	v_fma_f16 v5, -v7, v10, v5
	v_fmac_f16_e32 v12, v11, v7
	v_fmac_f16_e32 v9, v7, v10
	;; [unrolled: 1-line block ×3, first 2 shown]
	v_lshrrev_b32_e32 v7, 16, v4
	v_pack_b32_f16 v5, v5, v12
	v_pack_b32_f16 v1, v9, v1
	ds_write_b32 v32, v5 offset:3840
	ds_write_b32 v6, v1 offset:4800
	ds_read_b32 v1, v32 offset:4080
	ds_read_b32 v5, v6 offset:4560
	s_waitcnt lgkmcnt(0)
	v_add_f16_e32 v8, v1, v5
	v_add_f16_sdwa v9, v5, v1 dst_sel:DWORD dst_unused:UNUSED_PAD src0_sel:WORD_1 src1_sel:WORD_1
	v_sub_f16_e32 v10, v1, v5
	v_sub_f16_sdwa v5, v1, v5 dst_sel:DWORD dst_unused:UNUSED_PAD src0_sel:WORD_1 src1_sel:WORD_1
	v_add_nc_u32_e32 v1, 0xc00, v32
	v_fma_f16 v11, v10, v7, v8
	v_fma_f16 v12, v9, v7, v5
	v_fma_f16 v8, -v10, v7, v8
	v_fma_f16 v5, v9, v7, -v5
	v_fma_f16 v7, -v4, v9, v11
	v_fmac_f16_e32 v12, v10, v4
	v_fmac_f16_e32 v8, v4, v9
	;; [unrolled: 1-line block ×3, first 2 shown]
	v_add_nc_u32_e32 v4, 0x1600, v32
	v_pack_b32_f16 v7, v7, v12
	v_pack_b32_f16 v5, v8, v5
	ds_write_b32 v32, v7 offset:4080
	ds_write_b32 v6, v5 offset:4560
	s_waitcnt lgkmcnt(0)
	s_barrier
	buffer_gl0_inv
	s_barrier
	buffer_gl0_inv
	ds_read2_b32 v[30:31], v35 offset0:176 offset1:236
	ds_read2_b32 v[28:29], v1 offset0:96 offset1:156
	;; [unrolled: 1-line block ×4, first 2 shown]
	v_add_nc_u32_e32 v5, 0xe00, v32
	v_add_nc_u32_e32 v8, 0x2000, v32
	ds_read2_b32 v[45:46], v32 offset1:60
	ds_read2_b32 v[40:41], v38 offset0:56 offset1:116
	ds_read2_b32 v[49:50], v4 offset0:104 offset1:164
	ds_read2_b32 v[51:52], v37 offset0:88 offset1:148
	ds_read2_b32 v[42:43], v36 offset0:136 offset1:196
	ds_read2_b32 v[53:54], v39 offset0:152 offset1:212
	ds_read2_b32 v[12:13], v5 offset0:88 offset1:148
	ds_read2_b32 v[10:11], v33 offset0:136 offset1:196
	ds_read2_b32 v[6:7], v39 offset0:56 offset1:116
	ds_read2_b32 v[18:19], v36 offset0:40 offset1:100
	ds_read2_b32 v[4:5], v32 offset0:120 offset1:180
	ds_read2_b32 v[8:9], v8 offset0:16 offset1:76
	ds_read2_b32 v[14:15], v34 offset0:96 offset1:156
	ds_read2_b32 v[20:21], v1 offset1:60
	ds_read2_b32 v[16:17], v38 offset0:176 offset1:236
	ds_read2_b32 v[22:23], v35 offset0:80 offset1:140
	s_waitcnt lgkmcnt(0)
	s_barrier
	buffer_gl0_inv
	v_add_f16_e32 v69, v40, v49
	v_sub_f16_sdwa v70, v40, v49 dst_sel:DWORD dst_unused:UNUSED_PAD src0_sel:WORD_1 src1_sel:WORD_1
	v_pk_add_f16 v71, v51, v42
	v_pk_add_f16 v85, v52, v43
	v_add_f16_e32 v101, v42, v53
	v_sub_f16_e32 v86, v42, v40
	v_sub_f16_e32 v87, v40, v42
	v_pk_add_f16 v78, v46, v31
	v_pk_add_f16 v61, v45, v30
	v_add_f16_e32 v47, v28, v26
	v_add_f16_e32 v48, v30, v24
	;; [unrolled: 1-line block ×3, first 2 shown]
	v_add_f16_sdwa v62, v28, v26 dst_sel:DWORD dst_unused:UNUSED_PAD src0_sel:WORD_1 src1_sel:WORD_1
	v_add_f16_e32 v72, v29, v27
	v_sub_f16_sdwa v73, v31, v25 dst_sel:DWORD dst_unused:UNUSED_PAD src0_sel:WORD_1 src1_sel:WORD_1
	v_sub_f16_sdwa v74, v29, v27 dst_sel:DWORD dst_unused:UNUSED_PAD src0_sel:WORD_1 src1_sel:WORD_1
	v_sub_f16_e32 v75, v31, v29
	v_sub_f16_e32 v77, v29, v31
	v_add_f16_sdwa v79, v29, v27 dst_sel:DWORD dst_unused:UNUSED_PAD src0_sel:WORD_1 src1_sel:WORD_1
	v_sub_f16_e32 v80, v29, v27
	v_sub_f16_sdwa v81, v31, v29 dst_sel:DWORD dst_unused:UNUSED_PAD src0_sel:WORD_1 src1_sel:WORD_1
	v_sub_f16_sdwa v82, v29, v31 dst_sel:DWORD dst_unused:UNUSED_PAD src0_sel:WORD_1 src1_sel:WORD_1
	v_sub_f16_e32 v83, v31, v25
	v_add_f16_sdwa v84, v31, v25 dst_sel:DWORD dst_unused:UNUSED_PAD src0_sel:WORD_1 src1_sel:WORD_1
	v_add_f16_sdwa v88, v40, v49 dst_sel:DWORD dst_unused:UNUSED_PAD src0_sel:WORD_1 src1_sel:WORD_1
	v_sub_f16_e32 v89, v40, v49
	v_sub_f16_sdwa v90, v42, v40 dst_sel:DWORD dst_unused:UNUSED_PAD src0_sel:WORD_1 src1_sel:WORD_1
	v_sub_f16_sdwa v91, v40, v42 dst_sel:DWORD dst_unused:UNUSED_PAD src0_sel:WORD_1 src1_sel:WORD_1
	v_add_f16_e32 v92, v41, v50
	v_sub_f16_sdwa v93, v41, v50 dst_sel:DWORD dst_unused:UNUSED_PAD src0_sel:WORD_1 src1_sel:WORD_1
	v_sub_f16_e32 v94, v43, v41
	v_sub_f16_e32 v95, v41, v43
	v_add_f16_sdwa v96, v41, v50 dst_sel:DWORD dst_unused:UNUSED_PAD src0_sel:WORD_1 src1_sel:WORD_1
	v_sub_f16_e32 v97, v41, v50
	v_sub_f16_sdwa v98, v43, v41 dst_sel:DWORD dst_unused:UNUSED_PAD src0_sel:WORD_1 src1_sel:WORD_1
	v_sub_f16_sdwa v99, v41, v43 dst_sel:DWORD dst_unused:UNUSED_PAD src0_sel:WORD_1 src1_sel:WORD_1
	;; [unrolled: 1-line block ×3, first 2 shown]
	v_sub_f16_e32 v102, v42, v53
	v_add_f16_sdwa v103, v42, v53 dst_sel:DWORD dst_unused:UNUSED_PAD src0_sel:WORD_1 src1_sel:WORD_1
	v_lshrrev_b32_e32 v31, 16, v45
	v_lshrrev_b32_e32 v44, 16, v51
	;; [unrolled: 1-line block ×3, first 2 shown]
	v_pk_add_f16 v78, v78, v29
	v_pk_add_f16 v71, v71, v40
	;; [unrolled: 1-line block ×3, first 2 shown]
	v_fma_f16 v40, -0.5, v47, v45
	v_fma_f16 v41, -0.5, v48, v45
	;; [unrolled: 1-line block ×5, first 2 shown]
	v_sub_f16_sdwa v51, v49, v53 dst_sel:DWORD dst_unused:UNUSED_PAD src0_sel:WORD_1 src1_sel:WORD_1
	v_sub_f16_e32 v76, v50, v54
	v_sub_f16_sdwa v55, v30, v24 dst_sel:DWORD dst_unused:UNUSED_PAD src0_sel:WORD_1 src1_sel:WORD_1
	v_sub_f16_sdwa v56, v28, v26 dst_sel:DWORD dst_unused:UNUSED_PAD src0_sel:WORD_1 src1_sel:WORD_1
	v_sub_f16_e32 v58, v30, v28
	v_sub_f16_e32 v60, v28, v30
	;; [unrolled: 1-line block ×4, first 2 shown]
	v_sub_f16_sdwa v65, v30, v28 dst_sel:DWORD dst_unused:UNUSED_PAD src0_sel:WORD_1 src1_sel:WORD_1
	v_add_f16_sdwa v67, v30, v24 dst_sel:DWORD dst_unused:UNUSED_PAD src0_sel:WORD_1 src1_sel:WORD_1
	v_sub_f16_sdwa v68, v28, v30 dst_sel:DWORD dst_unused:UNUSED_PAD src0_sel:WORD_1 src1_sel:WORD_1
	v_add_f16_e32 v105, v43, v54
	v_lshrrev_b32_e32 v30, 16, v46
	v_sub_f16_sdwa v109, v53, v49 dst_sel:DWORD dst_unused:UNUSED_PAD src0_sel:WORD_1 src1_sel:WORD_1
	v_pk_add_f16 v61, v61, v28
	v_sub_f16_sdwa v110, v26, v24 dst_sel:DWORD dst_unused:UNUSED_PAD src0_sel:WORD_1 src1_sel:WORD_1
	v_sub_f16_e32 v111, v25, v27
	v_sub_f16_e32 v112, v27, v25
	v_sub_f16_sdwa v113, v25, v27 dst_sel:DWORD dst_unused:UNUSED_PAD src0_sel:WORD_1 src1_sel:WORD_1
	v_fma_f16 v28, -0.5, v72, v46
	v_sub_f16_e32 v46, v49, v53
	v_sub_f16_sdwa v72, v27, v25 dst_sel:DWORD dst_unused:UNUSED_PAD src0_sel:WORD_1 src1_sel:WORD_1
	v_pk_add_f16 v69, v78, v27
	v_pk_add_f16 v71, v71, v49
	;; [unrolled: 1-line block ×3, first 2 shown]
	v_fma_f16 v27, -0.5, v62, v31
	v_add_f16_e32 v91, v91, v51
	v_add_f16_e32 v76, v95, v76
	v_fma_f16 v51, -0.5, v96, v42
	v_sub_f16_sdwa v95, v16, v20 dst_sel:DWORD dst_unused:UNUSED_PAD src0_sel:WORD_1 src1_sel:WORD_1
	v_sub_f16_sdwa v96, v14, v8 dst_sel:DWORD dst_unused:UNUSED_PAD src0_sel:WORD_1 src1_sel:WORD_1
	v_sub_f16_e32 v57, v24, v26
	v_sub_f16_e32 v59, v26, v24
	v_sub_f16_sdwa v66, v24, v26 dst_sel:DWORD dst_unused:UNUSED_PAD src0_sel:WORD_1 src1_sel:WORD_1
	v_sub_f16_sdwa v104, v43, v54 dst_sel:DWORD dst_unused:UNUSED_PAD src0_sel:WORD_1 src1_sel:WORD_1
	v_sub_f16_e32 v106, v43, v54
	v_add_f16_sdwa v107, v43, v54 dst_sel:DWORD dst_unused:UNUSED_PAD src0_sel:WORD_1 src1_sel:WORD_1
	v_sub_f16_e32 v108, v53, v49
	v_fma_f16 v43, -0.5, v92, v52
	v_fma_f16 v45, -0.5, v105, v52
	v_sub_f16_e32 v52, v54, v50
	v_pk_add_f16 v61, v61, v26
	v_sub_f16_sdwa v78, v54, v50 dst_sel:DWORD dst_unused:UNUSED_PAD src0_sel:WORD_1 src1_sel:WORD_1
	v_sub_f16_sdwa v92, v50, v54 dst_sel:DWORD dst_unused:UNUSED_PAD src0_sel:WORD_1 src1_sel:WORD_1
	v_add_f16_e32 v90, v90, v109
	v_fmac_f16_e32 v31, -0.5, v67
	v_add_f16_sdwa v62, v12, v10 dst_sel:DWORD dst_unused:UNUSED_PAD src0_sel:WORD_1 src1_sel:WORD_1
	v_add_f16_e32 v67, v68, v110
	v_lshrrev_b32_e32 v26, 16, v4
	v_add_f16_e32 v68, v87, v46
	v_add_f16_sdwa v87, v18, v6 dst_sel:DWORD dst_unused:UNUSED_PAD src0_sel:WORD_1 src1_sel:WORD_1
	v_fma_f16 v49, -0.5, v88, v44
	v_fmac_f16_e32 v44, -0.5, v103
	v_sub_f16_sdwa v88, v12, v18 dst_sel:DWORD dst_unused:UNUSED_PAD src0_sel:WORD_1 src1_sel:WORD_1
	v_sub_f16_sdwa v103, v10, v6 dst_sel:DWORD dst_unused:UNUSED_PAD src0_sel:WORD_1 src1_sel:WORD_1
	v_sub_f16_e32 v109, v8, v14
	v_sub_f16_e32 v110, v20, v16
	v_add_f16_e32 v95, v95, v96
	v_fmamk_f16 v96, v56, 0xbb9c, v41
	v_fmac_f16_e32 v41, 0x3b9c, v56
	v_pk_add_f16 v53, v71, v53
	v_pk_add_f16 v54, v85, v54
	v_fmamk_f16 v71, v63, 0xbb9c, v27
	v_fmac_f16_e32 v27, 0x3b9c, v63
	v_fmamk_f16 v85, v70, 0xbb9c, v48
	v_fmac_f16_e32 v48, 0x3b9c, v70
	v_add_f16_e32 v94, v94, v52
	v_fma_f16 v46, -0.5, v79, v30
	v_fma_f16 v52, -0.5, v62, v26
	v_fmac_f16_e32 v26, -0.5, v87
	v_add_f16_e32 v87, v88, v103
	v_add_f16_e32 v103, v110, v109
	v_pk_add_f16 v25, v69, v25
	v_fmamk_f16 v69, v55, 0x3b9c, v40
	v_fmac_f16_e32 v40, 0xbb9c, v55
	v_fmamk_f16 v109, v64, 0x3b9c, v31
	v_fmac_f16_e32 v31, 0xbb9c, v64
	v_fmac_f16_e32 v96, 0x38b4, v55
	v_fmac_f16_e32 v41, 0xb8b4, v55
	v_fmamk_f16 v55, v100, 0x3b9c, v47
	v_fmac_f16_e32 v47, 0xbb9c, v100
	v_fmac_f16_e32 v85, 0x38b4, v100
	;; [unrolled: 4-line block ×3, first 2 shown]
	v_fmac_f16_e32 v27, 0x38b4, v64
	v_fmamk_f16 v64, v73, 0x3b9c, v28
	v_fmac_f16_e32 v28, 0xbb9c, v73
	v_fmac_f16_e32 v30, -0.5, v84
	v_fmac_f16_e32 v109, 0xb8b4, v63
	v_fmac_f16_e32 v31, 0x38b4, v63
	v_fmamk_f16 v63, v89, 0x3b9c, v44
	v_fmac_f16_e32 v44, 0xbb9c, v89
	v_fmac_f16_e32 v100, 0xb8b4, v89
	v_fmac_f16_e32 v49, 0x38b4, v89
	v_fmamk_f16 v89, v74, 0xbb9c, v29
	v_fmac_f16_e32 v29, 0x3b9c, v74
	;; [unrolled: 4-line block ×3, first 2 shown]
	v_sub_f16_e32 v101, v6, v10
	v_add_f16_e32 v57, v58, v57
	v_sub_f16_e32 v58, v18, v12
	v_add_f16_e32 v92, v99, v92
	v_add_f16_e32 v99, v12, v10
	v_fmac_f16_e32 v89, 0x38b4, v73
	v_fmac_f16_e32 v29, 0xb8b4, v73
	v_fmamk_f16 v73, v80, 0x3b9c, v30
	v_fmac_f16_e32 v30, 0xbb9c, v80
	v_fmac_f16_e32 v74, 0xb8b4, v80
	;; [unrolled: 1-line block ×3, first 2 shown]
	v_fmamk_f16 v80, v104, 0x3b9c, v43
	v_fmac_f16_e32 v43, 0xbb9c, v104
	v_add_f16_e32 v65, v65, v66
	v_sub_f16_e32 v66, v10, v6
	v_add_f16_e32 v86, v86, v108
	v_sub_f16_e32 v105, v12, v18
	v_sub_f16_sdwa v108, v18, v12 dst_sel:DWORD dst_unused:UNUSED_PAD src0_sel:WORD_1 src1_sel:WORD_1
	v_add_f16_e32 v59, v60, v59
	v_sub_f16_sdwa v60, v6, v10 dst_sel:DWORD dst_unused:UNUSED_PAD src0_sel:WORD_1 src1_sel:WORD_1
	v_fmac_f16_e32 v42, -0.5, v107
	v_add_f16_e32 v58, v58, v101
	v_add_f16_e32 v101, v18, v6
	v_sub_f16_sdwa v62, v18, v6 dst_sel:DWORD dst_unused:UNUSED_PAD src0_sel:WORD_1 src1_sel:WORD_1
	v_fma_f16 v99, -0.5, v99, v4
	v_fmac_f16_e32 v73, 0xb8b4, v83
	v_fmac_f16_e32 v30, 0x38b4, v83
	v_fmamk_f16 v83, v93, 0xbb9c, v45
	v_fmac_f16_e32 v45, 0x3b9c, v93
	v_fmac_f16_e32 v80, 0x38b4, v93
	;; [unrolled: 1-line block ×3, first 2 shown]
	v_fmamk_f16 v93, v106, 0xbb9c, v51
	v_fmac_f16_e32 v51, 0x3b9c, v106
	v_add_f16_e32 v72, v82, v72
	v_add_f16_sdwa v82, v16, v14 dst_sel:DWORD dst_unused:UNUSED_PAD src0_sel:WORD_1 src1_sel:WORD_1
	v_lshrrev_b32_e32 v50, 16, v22
	v_add_f16_sdwa v84, v20, v8 dst_sel:DWORD dst_unused:UNUSED_PAD src0_sel:WORD_1 src1_sel:WORD_1
	v_add_f16_e32 v66, v105, v66
	v_add_f16_e32 v60, v108, v60
	v_sub_f16_sdwa v88, v12, v10 dst_sel:DWORD dst_unused:UNUSED_PAD src0_sel:WORD_1 src1_sel:WORD_1
	v_sub_f16_e32 v105, v18, v6
	v_add_f16_e32 v108, v16, v14
	v_fma_f16 v101, -0.5, v101, v4
	v_fmac_f16_e32 v83, 0x38b4, v104
	v_fmac_f16_e32 v45, 0xb8b4, v104
	v_fmamk_f16 v104, v97, 0x3b9c, v42
	v_fmac_f16_e32 v42, 0xbb9c, v97
	v_fmac_f16_e32 v93, 0xb8b4, v97
	;; [unrolled: 1-line block ×3, first 2 shown]
	v_fmamk_f16 v97, v62, 0x3b9c, v99
	v_fmac_f16_e32 v99, 0xbb9c, v62
	v_sub_f16_e32 v107, v12, v10
	v_fma_f16 v82, -0.5, v82, v50
	v_fmac_f16_e32 v50, -0.5, v84
	v_add_f16_e32 v84, v20, v8
	v_pk_add_f16 v61, v61, v24
	v_fmac_f16_e32 v63, 0xb8b4, v102
	v_fmac_f16_e32 v44, 0x38b4, v102
	v_sub_f16_sdwa v24, v20, v8 dst_sel:DWORD dst_unused:UNUSED_PAD src0_sel:WORD_1 src1_sel:WORD_1
	v_fma_f16 v102, -0.5, v108, v22
	v_fmac_f16_e32 v104, 0xb8b4, v106
	v_fmac_f16_e32 v42, 0x38b4, v106
	v_fmamk_f16 v106, v88, 0xbb9c, v101
	v_fmac_f16_e32 v101, 0x3b9c, v88
	v_fmac_f16_e32 v97, 0x38b4, v88
	;; [unrolled: 1-line block ×3, first 2 shown]
	v_fmamk_f16 v88, v105, 0xbb9c, v52
	v_fmac_f16_e32 v52, 0x3b9c, v105
	v_fmac_f16_e32 v55, 0x38b4, v70
	;; [unrolled: 1-line block ×3, first 2 shown]
	v_sub_f16_sdwa v70, v16, v14 dst_sel:DWORD dst_unused:UNUSED_PAD src0_sel:WORD_1 src1_sel:WORD_1
	v_fma_f16 v84, -0.5, v84, v22
	v_fmac_f16_e32 v106, 0x38b4, v62
	v_fmac_f16_e32 v101, 0xb8b4, v62
	v_fmamk_f16 v62, v107, 0x3b9c, v26
	v_fmac_f16_e32 v26, 0xbb9c, v107
	v_fmac_f16_e32 v88, 0xb8b4, v107
	;; [unrolled: 1-line block ×3, first 2 shown]
	v_fmamk_f16 v107, v24, 0x3b9c, v102
	v_fmac_f16_e32 v102, 0xbb9c, v24
	v_pk_add_f16 v4, v4, v18
	v_pk_add_f16 v18, v22, v20
	v_fmac_f16_e32 v69, 0x38b4, v56
	v_fmac_f16_e32 v40, 0xb8b4, v56
	v_sub_f16_e32 v56, v20, v8
	v_fmac_f16_e32 v62, 0xb8b4, v105
	v_fmac_f16_e32 v26, 0x38b4, v105
	v_fmamk_f16 v105, v70, 0xbb9c, v84
	v_fmac_f16_e32 v84, 0x3b9c, v70
	v_fmac_f16_e32 v107, 0x38b4, v70
	v_fmac_f16_e32 v102, 0xb8b4, v70
	v_sub_f16_e32 v70, v16, v14
	v_pk_add_f16 v4, v4, v12
	v_pk_add_f16 v12, v18, v16
	v_add_f16_e32 v75, v75, v111
	v_sub_f16_e32 v111, v14, v8
	v_add_f16_e32 v78, v98, v78
	v_sub_f16_e32 v98, v16, v20
	v_add_f16_e32 v77, v77, v112
	v_sub_f16_sdwa v112, v20, v16 dst_sel:DWORD dst_unused:UNUSED_PAD src0_sel:WORD_1 src1_sel:WORD_1
	v_sub_f16_sdwa v79, v8, v14 dst_sel:DWORD dst_unused:UNUSED_PAD src0_sel:WORD_1 src1_sel:WORD_1
	v_fmamk_f16 v108, v56, 0xbb9c, v82
	v_fmac_f16_e32 v82, 0x3b9c, v56
	v_fmamk_f16 v110, v70, 0x3b9c, v50
	v_fmac_f16_e32 v50, 0xbb9c, v70
	v_pk_add_f16 v4, v4, v10
	v_pk_add_f16 v10, v12, v14
	v_add_f16_e32 v98, v98, v111
	v_add_f16_e32 v79, v112, v79
	v_fmac_f16_e32 v105, 0x38b4, v24
	v_fmac_f16_e32 v84, 0xb8b4, v24
	;; [unrolled: 1-line block ×11, first 2 shown]
	v_pk_add_f16 v4, v4, v6
	v_pk_add_f16 v6, v10, v8
	v_fmac_f16_e32 v104, 0x34f2, v92
	v_fmac_f16_e32 v63, 0x34f2, v91
	v_add_f16_e32 v81, v81, v113
	v_fmac_f16_e32 v108, 0xb8b4, v70
	v_fmac_f16_e32 v100, 0x34f2, v90
	;; [unrolled: 1-line block ×10, first 2 shown]
	v_pk_add_f16 v8, v25, v54
	v_pk_add_f16 v10, v25, v54 neg_lo:[0,1] neg_hi:[0,1]
	v_fmac_f16_e32 v97, 0x34f2, v58
	v_fmac_f16_e32 v99, 0x34f2, v58
	;; [unrolled: 1-line block ×9, first 2 shown]
	v_pk_add_f16 v12, v4, v6
	v_pk_add_f16 v4, v4, v6 neg_lo:[0,1] neg_hi:[0,1]
	v_mul_f16_e32 v6, 0x3a79, v55
	v_mul_f16_e32 v14, 0xb8b4, v55
	;; [unrolled: 1-line block ×9, first 2 shown]
	v_mul_u32_u24_e32 v24, 10, v0
	v_fmac_f16_e32 v69, 0x34f2, v57
	v_fmac_f16_e32 v71, 0x34f2, v65
	;; [unrolled: 1-line block ×14, first 2 shown]
	v_mul_f16_e32 v60, 0x3a79, v80
	v_mul_f16_e32 v66, 0xb8b4, v80
	;; [unrolled: 1-line block ×5, first 2 shown]
	v_fmac_f16_e32 v6, 0x38b4, v100
	v_fmac_f16_e32 v14, 0x3a79, v100
	v_mul_f16_e32 v78, 0x3a79, v43
	v_fma_f16 v18, v44, 0x3b9c, -v18
	v_mul_f16_e32 v44, 0x3a79, v51
	v_fma_f16 v22, v48, 0xbb9c, -v22
	v_mul_f16_e32 v48, 0x3a79, v107
	v_mul_f16_e32 v79, 0xb8b4, v107
	;; [unrolled: 1-line block ×3, first 2 shown]
	v_fmac_f16_e32 v54, 0x34f2, v63
	v_mul_f16_e32 v63, 0xbb9c, v105
	v_fma_f16 v49, v49, 0x38b4, -v55
	v_mul_f16_e32 v55, 0x34f2, v84
	v_fma_f16 v47, v47, 0xb8b4, -v58
	v_mul_f16_e32 v58, 0x34f2, v50
	v_mul_f16_e32 v81, 0x3a79, v102
	v_fmac_f16_e32 v72, 0x34f2, v83
	v_mul_f16_e32 v83, 0x3a79, v82
	v_fmac_f16_e32 v96, 0x34f2, v59
	v_fmac_f16_e32 v41, 0x34f2, v59
	;; [unrolled: 1-line block ×7, first 2 shown]
	v_lshl_add_u32 v56, v24, 2, 0
	v_fmac_f16_e32 v62, 0x34f2, v87
	v_fmac_f16_e32 v26, 0x34f2, v87
	;; [unrolled: 1-line block ×5, first 2 shown]
	v_fma_f16 v42, v42, 0x3b9c, -v76
	v_fma_f16 v45, v45, 0xbb9c, -v77
	v_fma_f16 v51, v51, 0x38b4, -v78
	v_fma_f16 v43, v43, 0xb8b4, -v44
	v_fmac_f16_e32 v48, 0x38b4, v108
	v_fmac_f16_e32 v79, 0x3a79, v108
	;; [unrolled: 1-line block ×4, first 2 shown]
	v_fma_f16 v44, v50, 0x3b9c, -v55
	v_fma_f16 v50, v84, 0xbb9c, -v58
	;; [unrolled: 1-line block ×4, first 2 shown]
	v_add_f16_e32 v76, v69, v6
	v_add_f16_e32 v77, v71, v14
	v_sub_f16_e32 v6, v69, v6
	v_add_f16_e32 v69, v96, v25
	v_sub_f16_e32 v14, v71, v14
	v_add_f16_e32 v71, v109, v54
	v_add_f16_e32 v78, v41, v18
	v_sub_f16_e32 v18, v41, v18
	v_add_f16_e32 v41, v40, v49
	v_sub_f16_e32 v40, v40, v49
	;; [unrolled: 2-line block ×4, first 2 shown]
	v_sub_f16_e32 v54, v109, v54
	v_sub_f16_e32 v22, v31, v22
	v_add_nc_u32_e32 v24, 0x960, v56
	v_pk_add_f16 v86, v61, v53
	v_add_f16_e32 v31, v64, v60
	v_sub_f16_e32 v60, v64, v60
	v_add_f16_e32 v64, v89, v72
	v_sub_f16_e32 v72, v89, v72
	;; [unrolled: 2-line block ×16, first 2 shown]
	v_pack_b32_f16 v58, v76, v77
	v_pack_b32_f16 v47, v78, v47
	;; [unrolled: 1-line block ×3, first 2 shown]
	v_pk_add_f16 v53, v61, v53 neg_lo:[0,1] neg_hi:[0,1]
	v_pack_b32_f16 v41, v41, v49
	v_pack_b32_f16 v6, v6, v14
	;; [unrolled: 1-line block ×5, first 2 shown]
	v_add_nc_u32_e32 v59, 0x968, v56
	v_add_nc_u32_e32 v67, 0x970, v56
	;; [unrolled: 1-line block ×9, first 2 shown]
	v_pack_b32_f16 v22, v31, v51
	v_pack_b32_f16 v27, v81, v75
	;; [unrolled: 1-line block ×16, first 2 shown]
	ds_write2_b32 v56, v86, v58 offset1:1
	ds_write2_b32 v56, v69, v47 offset0:2 offset1:3
	ds_write2_b32 v56, v41, v53 offset0:4 offset1:5
	;; [unrolled: 1-line block ×4, first 2 shown]
	ds_write2_b32 v24, v8, v22 offset1:1
	ds_write2_b32 v59, v31, v27 offset1:1
	;; [unrolled: 1-line block ×10, first 2 shown]
	s_and_saveexec_b32 s1, s0
	s_cbranch_execz .LBB0_19
; %bb.18:
	v_sub_f16_e32 v20, v9, v15
	v_sub_f16_e32 v30, v21, v17
	v_add_f16_sdwa v16, v17, v15 dst_sel:DWORD dst_unused:UNUSED_PAD src0_sel:WORD_1 src1_sel:WORD_1
	v_lshrrev_b32_e32 v18, 16, v23
	v_add_f16_sdwa v8, v13, v11 dst_sel:DWORD dst_unused:UNUSED_PAD src0_sel:WORD_1 src1_sel:WORD_1
	v_lshrrev_b32_e32 v10, 16, v5
	v_sub_f16_sdwa v26, v21, v17 dst_sel:DWORD dst_unused:UNUSED_PAD src0_sel:WORD_1 src1_sel:WORD_1
	v_sub_f16_sdwa v27, v9, v15 dst_sel:DWORD dst_unused:UNUSED_PAD src0_sel:WORD_1 src1_sel:WORD_1
	v_add_f16_e32 v20, v30, v20
	v_add_f16_sdwa v30, v19, v7 dst_sel:DWORD dst_unused:UNUSED_PAD src0_sel:WORD_1 src1_sel:WORD_1
	v_add_f16_e32 v14, v17, v15
	v_sub_f16_e32 v22, v21, v9
	v_fma_f16 v16, -0.5, v16, v18
	v_sub_f16_e32 v12, v19, v7
	v_fma_f16 v8, -0.5, v8, v10
	v_add_f16_e32 v26, v26, v27
	v_sub_f16_e32 v27, v13, v11
	v_fmac_f16_e32 v10, -0.5, v30
	v_fma_f16 v14, -0.5, v14, v23
	v_sub_f16_sdwa v25, v21, v9 dst_sel:DWORD dst_unused:UNUSED_PAD src0_sel:WORD_1 src1_sel:WORD_1
	v_sub_f16_e32 v28, v17, v15
	v_fmamk_f16 v29, v22, 0x3b9c, v16
	v_add_f16_sdwa v42, v21, v9 dst_sel:DWORD dst_unused:UNUSED_PAD src0_sel:WORD_1 src1_sel:WORD_1
	v_add_f16_e32 v44, v21, v9
	v_sub_f16_sdwa v4, v19, v13 dst_sel:DWORD dst_unused:UNUSED_PAD src0_sel:WORD_1 src1_sel:WORD_1
	v_sub_f16_sdwa v6, v7, v11 dst_sel:DWORD dst_unused:UNUSED_PAD src0_sel:WORD_1 src1_sel:WORD_1
	v_fmamk_f16 v41, v12, 0x3b9c, v8
	v_fmamk_f16 v50, v27, 0xbb9c, v10
	v_fmac_f16_e32 v10, 0x3b9c, v27
	v_fmac_f16_e32 v8, 0xbb9c, v12
	v_fmamk_f16 v31, v25, 0xbb9c, v14
	v_sub_f16_sdwa v40, v17, v15 dst_sel:DWORD dst_unused:UNUSED_PAD src0_sel:WORD_1 src1_sel:WORD_1
	v_fmac_f16_e32 v29, 0x38b4, v28
	v_sub_f16_sdwa v43, v13, v19 dst_sel:DWORD dst_unused:UNUSED_PAD src0_sel:WORD_1 src1_sel:WORD_1
	v_sub_f16_sdwa v45, v11, v7 dst_sel:DWORD dst_unused:UNUSED_PAD src0_sel:WORD_1 src1_sel:WORD_1
	v_fmac_f16_e32 v18, -0.5, v42
	v_fma_f16 v42, -0.5, v44, v23
	v_fmac_f16_e32 v16, 0xbb9c, v22
	v_add_f16_e32 v4, v4, v6
	v_fmac_f16_e32 v41, 0x38b4, v27
	v_fmac_f16_e32 v50, 0x38b4, v12
	;; [unrolled: 1-line block ×5, first 2 shown]
	v_add_f16_e32 v12, v13, v11
	v_fmac_f16_e32 v31, 0xb8b4, v40
	v_fmac_f16_e32 v29, 0x34f2, v26
	v_sub_f16_e32 v30, v15, v9
	v_sub_f16_sdwa v44, v17, v21 dst_sel:DWORD dst_unused:UNUSED_PAD src0_sel:WORD_1 src1_sel:WORD_1
	v_sub_f16_sdwa v46, v15, v9 dst_sel:DWORD dst_unused:UNUSED_PAD src0_sel:WORD_1 src1_sel:WORD_1
	v_fmamk_f16 v47, v28, 0xbb9c, v18
	v_sub_f16_e32 v48, v17, v21
	v_fmamk_f16 v49, v40, 0x3b9c, v42
	v_add_f16_e32 v43, v43, v45
	v_fmac_f16_e32 v42, 0xbb9c, v40
	v_fmac_f16_e32 v18, 0x3b9c, v28
	;; [unrolled: 1-line block ×3, first 2 shown]
	v_add_f16_e32 v28, v19, v7
	v_fmac_f16_e32 v41, 0x34f2, v4
	v_fmac_f16_e32 v14, 0x38b4, v40
	;; [unrolled: 1-line block ×3, first 2 shown]
	v_fma_f16 v4, -0.5, v12, v5
	v_sub_f16_sdwa v12, v19, v7 dst_sel:DWORD dst_unused:UNUSED_PAD src0_sel:WORD_1 src1_sel:WORD_1
	v_fmac_f16_e32 v31, 0x34f2, v20
	v_mul_f16_e32 v6, 0x3a79, v29
	v_add_f16_e32 v44, v44, v46
	v_fmac_f16_e32 v47, 0x38b4, v22
	v_add_f16_e32 v30, v48, v30
	v_fmac_f16_e32 v49, 0xb8b4, v25
	v_fmac_f16_e32 v42, 0x38b4, v25
	;; [unrolled: 1-line block ×6, first 2 shown]
	v_sub_f16_e32 v25, v7, v11
	v_sub_f16_e32 v26, v19, v13
	v_sub_f16_sdwa v40, v13, v11 dst_sel:DWORD dst_unused:UNUSED_PAD src0_sel:WORD_1 src1_sel:WORD_1
	v_pk_add_f16 v43, v5, v19
	v_fmac_f16_e32 v5, -0.5, v28
	v_fmac_f16_e32 v14, 0x34f2, v20
	v_fmamk_f16 v27, v12, 0xbb9c, v4
	v_pk_add_f16 v21, v23, v21
	v_fmac_f16_e32 v4, 0x3b9c, v12
	v_fma_f16 v6, v31, 0xb8b4, -v6
	v_fmac_f16_e32 v47, 0x34f2, v44
	v_fmac_f16_e32 v49, 0x34f2, v30
	;; [unrolled: 1-line block ×4, first 2 shown]
	v_add_f16_e32 v25, v26, v25
	v_mul_f16_e32 v26, 0x3a79, v31
	v_sub_f16_e32 v28, v11, v7
	v_sub_f16_e32 v19, v13, v19
	v_fmamk_f16 v31, v40, 0x3b9c, v5
	v_fmac_f16_e32 v5, 0xbb9c, v40
	v_mul_f16_e32 v20, 0xb8b4, v14
	v_fmac_f16_e32 v4, 0x38b4, v40
	v_mul_f16_e32 v14, 0x3a79, v14
	v_pk_add_f16 v13, v43, v13
	v_pk_add_f16 v17, v21, v17
	v_mul_f16_e32 v45, 0x34f2, v47
	v_mul_f16_e32 v44, 0xbb9c, v42
	v_add_f16_e32 v19, v19, v28
	v_fmac_f16_e32 v31, 0xb8b4, v12
	v_mul_f16_e32 v28, 0x34f2, v49
	v_fmac_f16_e32 v5, 0x38b4, v12
	v_mul_f16_e32 v12, 0x3b9c, v18
	v_fmac_f16_e32 v27, 0xb8b4, v40
	v_fmac_f16_e32 v20, 0x3a79, v16
	;; [unrolled: 1-line block ×4, first 2 shown]
	v_pk_add_f16 v11, v13, v11
	v_pk_add_f16 v13, v17, v15
	v_fma_f16 v30, v49, 0xbb9c, -v45
	v_fmac_f16_e32 v44, 0x34f2, v18
	v_fmac_f16_e32 v31, 0x34f2, v19
	v_fma_f16 v18, v47, 0x3b9c, -v28
	v_fmac_f16_e32 v5, 0x34f2, v19
	v_fmac_f16_e32 v12, 0x34f2, v42
	;; [unrolled: 1-line block ×3, first 2 shown]
	v_fma_f16 v26, v29, 0x38b4, -v26
	v_sub_f16_e32 v48, v8, v20
	v_sub_f16_e32 v21, v4, v14
	v_add_f16_e32 v8, v8, v20
	v_pk_add_f16 v7, v11, v7
	v_pk_add_f16 v9, v13, v9
	v_add_f16_e32 v4, v4, v14
	v_sub_f16_e32 v22, v10, v44
	v_sub_f16_e32 v19, v5, v12
	v_add_f16_e32 v15, v50, v30
	v_add_f16_e32 v10, v10, v44
	;; [unrolled: 1-line block ×4, first 2 shown]
	v_sub_f16_e32 v45, v41, v6
	v_add_f16_e32 v6, v41, v6
	v_add_f16_e32 v11, v27, v26
	v_sub_f16_e32 v46, v50, v30
	v_sub_f16_e32 v23, v27, v26
	;; [unrolled: 1-line block ×3, first 2 shown]
	v_pk_add_f16 v12, v7, v9
	v_add_nc_u32_e32 v14, 0x12c0, v24
	v_pack_b32_f16 v4, v4, v8
	v_add_nc_u32_e32 v8, 0x12c8, v24
	v_pack_b32_f16 v13, v13, v15
	v_pack_b32_f16 v5, v5, v10
	v_add_nc_u32_e32 v10, 0x12d0, v24
	v_pk_add_f16 v7, v7, v9 neg_lo:[0,1] neg_hi:[0,1]
	v_pack_b32_f16 v6, v11, v6
	v_add_nc_u32_e32 v9, 0x12d8, v24
	v_pack_b32_f16 v11, v21, v48
	v_pack_b32_f16 v15, v19, v22
	v_add_nc_u32_e32 v17, 0x12e0, v24
	v_pack_b32_f16 v18, v23, v45
	v_pack_b32_f16 v16, v16, v46
	ds_write2_b32 v14, v12, v4 offset1:1
	ds_write2_b32 v8, v5, v13 offset1:1
	;; [unrolled: 1-line block ×5, first 2 shown]
.LBB0_19:
	s_or_b32 exec_lo, exec_lo, s1
	v_and_b32_e32 v4, 0xff, v0
	v_add_nc_u32_e32 v6, 0xf0, v0
	v_mov_b32_e32 v8, 5
	v_add_nc_u32_e32 v11, 60, v0
	s_waitcnt lgkmcnt(0)
	v_mul_lo_u16 v4, 0xcd, v4
	s_barrier
	buffer_gl0_inv
	v_and_b32_e32 v10, 0xff, v11
	v_add_nc_u16 v15, v0, 0x78
	v_lshrrev_b16 v12, 11, v4
	v_mov_b32_e32 v4, 0xcccd
	v_add_nc_u16 v13, v0, 0xb4
	v_mul_lo_u16 v10, 0xcd, v10
	v_and_b32_e32 v16, 0xff, v15
	v_mul_lo_u16 v5, v12, 10
	v_mul_u32_u24_sdwa v7, v6, v4 dst_sel:DWORD dst_unused:UNUSED_PAD src0_sel:WORD_0 src1_sel:DWORD
	v_lshrrev_b16 v26, 11, v10
	v_mul_lo_u16 v14, 0xcd, v16
	v_sub_nc_u16 v21, v0, v5
	v_lshrrev_b32_e32 v17, 19, v7
	v_add_nc_u32_e32 v7, 0x12c, v0
	v_mul_lo_u16 v10, v26, 10
	v_lshrrev_b16 v24, 11, v14
	v_mul_u32_u24_sdwa v5, v21, v8 dst_sel:DWORD dst_unused:UNUSED_PAD src0_sel:BYTE_0 src1_sel:DWORD
	v_mul_lo_u16 v9, v17, 10
	v_mul_u32_u24_sdwa v4, v7, v4 dst_sel:DWORD dst_unused:UNUSED_PAD src0_sel:WORD_0 src1_sel:DWORD
	v_sub_nc_u16 v27, v11, v10
	v_and_b32_e32 v14, 0xff, v13
	v_lshlrev_b32_e32 v5, 2, v5
	v_sub_nc_u16 v18, v6, v9
	v_lshrrev_b32_e32 v19, 19, v4
	v_mul_u32_u24_sdwa v10, v27, v8 dst_sel:DWORD dst_unused:UNUSED_PAD src0_sel:BYTE_0 src1_sel:DWORD
	v_mul_lo_u16 v22, v24, 10
	global_load_dwordx4 v[28:31], v5, s[8:9]
	v_mul_u32_u24_sdwa v9, v18, v8 dst_sel:DWORD dst_unused:UNUSED_PAD src0_sel:WORD_0 src1_sel:DWORD
	v_mul_lo_u16 v23, 0xcd, v14
	v_lshlrev_b32_e32 v10, 2, v10
	v_sub_nc_u16 v25, v15, v22
	v_lshlrev_b32_e32 v4, 2, v9
	v_mul_lo_u16 v9, v19, 10
	v_lshrrev_b16 v22, 11, v23
	v_mul_u32_u24_sdwa v23, v25, v8 dst_sel:DWORD dst_unused:UNUSED_PAD src0_sel:BYTE_0 src1_sel:DWORD
	s_clause 0x1
	global_load_dwordx4 v[58:61], v10, s[8:9]
	global_load_dwordx4 v[40:43], v4, s[8:9]
	v_sub_nc_u16 v20, v7, v9
	v_mul_lo_u16 v44, v22, 10
	v_lshlrev_b32_e32 v45, 2, v23
	v_mul_u32_u24_sdwa v9, v20, v8 dst_sel:DWORD dst_unused:UNUSED_PAD src0_sel:WORD_0 src1_sel:DWORD
	v_sub_nc_u16 v23, v13, v44
	global_load_dwordx4 v[62:65], v45, s[8:9]
	v_lshlrev_b32_e32 v9, 2, v9
	v_mul_u32_u24_sdwa v8, v23, v8 dst_sel:DWORD dst_unused:UNUSED_PAD src0_sel:BYTE_0 src1_sel:DWORD
	global_load_dwordx4 v[54:57], v9, s[8:9]
	v_lshlrev_b32_e32 v8, 2, v8
	s_clause 0x6
	global_load_dwordx4 v[66:69], v8, s[8:9]
	global_load_dword v49, v5, s[8:9] offset:16
	global_load_dword v96, v4, s[8:9] offset:16
	;; [unrolled: 1-line block ×6, first 2 shown]
	ds_read2_b32 v[47:48], v35 offset0:104 offset1:164
	v_add_nc_u32_e32 v9, 0xa00, v32
	ds_read2_b32 v[70:71], v38 offset0:56 offset1:116
	ds_read2_b32 v[72:73], v33 offset0:160 offset1:220
	ds_read2_b32 v[74:75], v36 offset0:88 offset1:148
	ds_read2_b32 v[76:77], v1 offset0:192 offset1:252
	ds_read2_b32 v[78:79], v33 offset0:40 offset1:100
	ds_read2_b32 v[80:81], v34 offset0:144 offset1:204
	ds_read2_b32 v[82:83], v9 offset0:80 offset1:140
	ds_read2_b32 v[84:85], v32 offset1:60
	ds_read2_b32 v[86:87], v39 offset0:8 offset1:68
	ds_read2_b32 v[4:5], v32 offset0:120 offset1:180
	v_add_nc_u32_e32 v8, 0x600, v32
	ds_read2_b32 v[88:89], v1 offset0:72 offset1:132
	ds_read2_b32 v[90:91], v38 offset0:176 offset1:236
	;; [unrolled: 1-line block ×4, first 2 shown]
	s_waitcnt lgkmcnt(13)
	v_lshrrev_b32_e32 v44, 16, v70
	s_waitcnt lgkmcnt(12)
	v_lshrrev_b32_e32 v45, 16, v72
	;; [unrolled: 2-line block ×4, first 2 shown]
	v_lshrrev_b32_e32 v103, 16, v75
	s_waitcnt lgkmcnt(8)
	v_lshrrev_b32_e32 v102, 16, v80
	s_waitcnt lgkmcnt(7)
	v_lshrrev_b32_e32 v46, 16, v82
	v_lshrrev_b32_e32 v10, 16, v47
	v_lshrrev_b32_e32 v101, 16, v78
	v_lshrrev_b32_e32 v104, 16, v77
	v_lshrrev_b32_e32 v105, 16, v79
	s_waitcnt vmcnt(11)
	v_mul_f16_sdwa v106, v47, v28 dst_sel:DWORD dst_unused:UNUSED_PAD src0_sel:DWORD src1_sel:WORD_1
	v_mul_f16_sdwa v107, v82, v29 dst_sel:DWORD dst_unused:UNUSED_PAD src0_sel:DWORD src1_sel:WORD_1
	;; [unrolled: 1-line block ×5, first 2 shown]
	v_fmac_f16_e32 v106, v10, v28
	v_mul_f16_sdwa v109, v72, v31 dst_sel:DWORD dst_unused:UNUSED_PAD src0_sel:DWORD src1_sel:WORD_1
	v_fmac_f16_e32 v107, v46, v29
	v_mul_f16_sdwa v10, v44, v30 dst_sel:DWORD dst_unused:UNUSED_PAD src0_sel:DWORD src1_sel:WORD_1
	v_mul_f16_sdwa v46, v45, v31 dst_sel:DWORD dst_unused:UNUSED_PAD src0_sel:DWORD src1_sel:WORD_1
	v_fmac_f16_e32 v108, v44, v30
	v_fmac_f16_e32 v109, v45, v31
	s_waitcnt vmcnt(9)
	v_mul_f16_sdwa v44, v74, v40 dst_sel:DWORD dst_unused:UNUSED_PAD src0_sel:DWORD src1_sel:WORD_1
	v_fma_f16 v110, v47, v28, -v51
	v_fma_f16 v70, v70, v30, -v10
	;; [unrolled: 1-line block ×3, first 2 shown]
	v_mul_f16_sdwa v10, v50, v40 dst_sel:DWORD dst_unused:UNUSED_PAD src0_sel:DWORD src1_sel:WORD_1
	v_mul_f16_sdwa v51, v76, v41 dst_sel:DWORD dst_unused:UNUSED_PAD src0_sel:DWORD src1_sel:WORD_1
	;; [unrolled: 1-line block ×4, first 2 shown]
	v_fma_f16 v82, v82, v29, -v53
	v_mul_f16_sdwa v46, v78, v42 dst_sel:DWORD dst_unused:UNUSED_PAD src0_sel:DWORD src1_sel:WORD_1
	v_fmac_f16_e32 v44, v50, v40
	v_mul_f16_sdwa v53, v80, v43 dst_sel:DWORD dst_unused:UNUSED_PAD src0_sel:DWORD src1_sel:WORD_1
	v_fmac_f16_e32 v51, v52, v41
	v_mul_f16_sdwa v29, v101, v42 dst_sel:DWORD dst_unused:UNUSED_PAD src0_sel:DWORD src1_sel:WORD_1
	v_fma_f16 v45, v74, v40, -v10
	s_waitcnt vmcnt(7)
	v_mul_f16_sdwa v31, v103, v54 dst_sel:DWORD dst_unused:UNUSED_PAD src0_sel:DWORD src1_sel:WORD_1
	v_fma_f16 v50, v76, v41, -v28
	v_fma_f16 v52, v80, v43, -v30
	v_lshrrev_b32_e32 v76, 16, v81
	v_mul_f16_sdwa v30, v104, v55 dst_sel:DWORD dst_unused:UNUSED_PAD src0_sel:DWORD src1_sel:WORD_1
	v_mul_f16_sdwa v40, v105, v56 dst_sel:DWORD dst_unused:UNUSED_PAD src0_sel:DWORD src1_sel:WORD_1
	v_fma_f16 v28, v75, v54, -v31
	v_mul_f16_sdwa v31, v79, v56 dst_sel:DWORD dst_unused:UNUSED_PAD src0_sel:DWORD src1_sel:WORD_1
	v_fmac_f16_e32 v46, v101, v42
	v_fmac_f16_e32 v53, v102, v43
	v_fma_f16 v47, v78, v42, -v29
	v_mul_f16_sdwa v29, v75, v54 dst_sel:DWORD dst_unused:UNUSED_PAD src0_sel:DWORD src1_sel:WORD_1
	v_mul_f16_sdwa v42, v77, v55 dst_sel:DWORD dst_unused:UNUSED_PAD src0_sel:DWORD src1_sel:WORD_1
	v_fma_f16 v41, v77, v55, -v30
	ds_read2_b32 v[74:75], v8 offset0:96 offset1:156
	v_fma_f16 v30, v79, v56, -v40
	v_mul_f16_sdwa v43, v76, v57 dst_sel:DWORD dst_unused:UNUSED_PAD src0_sel:DWORD src1_sel:WORD_1
	v_lshrrev_b32_e32 v77, 16, v48
	v_mul_f16_sdwa v40, v81, v57 dst_sel:DWORD dst_unused:UNUSED_PAD src0_sel:DWORD src1_sel:WORD_1
	v_fmac_f16_e32 v31, v105, v56
	v_lshrrev_b32_e32 v56, 16, v83
	v_fma_f16 v43, v81, v57, -v43
	v_lshrrev_b32_e32 v78, 16, v73
	v_fmac_f16_e32 v40, v76, v57
	v_mul_f16_sdwa v57, v77, v58 dst_sel:DWORD dst_unused:UNUSED_PAD src0_sel:DWORD src1_sel:WORD_1
	v_lshrrev_b32_e32 v76, 16, v71
	v_mul_f16_sdwa v79, v56, v59 dst_sel:DWORD dst_unused:UNUSED_PAD src0_sel:DWORD src1_sel:WORD_1
	v_mul_f16_sdwa v80, v48, v58 dst_sel:DWORD dst_unused:UNUSED_PAD src0_sel:DWORD src1_sel:WORD_1
	;; [unrolled: 1-line block ×3, first 2 shown]
	v_fma_f16 v57, v48, v58, -v57
	v_mul_f16_sdwa v48, v76, v60 dst_sel:DWORD dst_unused:UNUSED_PAD src0_sel:DWORD src1_sel:WORD_1
	v_fma_f16 v79, v83, v59, -v79
	v_mul_f16_sdwa v83, v78, v61 dst_sel:DWORD dst_unused:UNUSED_PAD src0_sel:DWORD src1_sel:WORD_1
	v_add_nc_u32_e32 v10, 0x1e00, v32
	v_fmac_f16_e32 v29, v103, v54
	v_fma_f16 v102, v71, v60, -v48
	v_mul_f16_sdwa v71, v71, v60 dst_sel:DWORD dst_unused:UNUSED_PAD src0_sel:DWORD src1_sel:WORD_1
	v_fma_f16 v83, v73, v61, -v83
	v_mul_f16_sdwa v73, v73, v61 dst_sel:DWORD dst_unused:UNUSED_PAD src0_sel:DWORD src1_sel:WORD_1
	s_waitcnt lgkmcnt(4)
	v_lshrrev_b32_e32 v101, 16, v88
	s_waitcnt lgkmcnt(3)
	v_lshrrev_b32_e32 v48, 16, v90
	;; [unrolled: 2-line block ×3, first 2 shown]
	v_fmac_f16_e32 v81, v56, v59
	s_waitcnt lgkmcnt(0)
	v_lshrrev_b32_e32 v56, 16, v74
	v_fmac_f16_e32 v71, v76, v60
	v_fmac_f16_e32 v73, v78, v61
	v_mul_f16_sdwa v60, v74, v62 dst_sel:DWORD dst_unused:UNUSED_PAD src0_sel:DWORD src1_sel:WORD_1
	v_mul_f16_sdwa v76, v88, v63 dst_sel:DWORD dst_unused:UNUSED_PAD src0_sel:DWORD src1_sel:WORD_1
	;; [unrolled: 1-line block ×3, first 2 shown]
	v_fmac_f16_e32 v42, v104, v55
	ds_read2_b32 v[54:55], v10 offset0:120 offset1:180
	v_fmac_f16_e32 v80, v77, v58
	v_lshrrev_b32_e32 v58, 16, v89
	v_mul_f16_sdwa v61, v56, v62 dst_sel:DWORD dst_unused:UNUSED_PAD src0_sel:DWORD src1_sel:WORD_1
	v_mul_f16_sdwa v77, v101, v63 dst_sel:DWORD dst_unused:UNUSED_PAD src0_sel:DWORD src1_sel:WORD_1
	v_fmac_f16_e32 v60, v56, v62
	v_mul_f16_sdwa v56, v92, v65 dst_sel:DWORD dst_unused:UNUSED_PAD src0_sel:DWORD src1_sel:WORD_1
	v_fmac_f16_e32 v76, v101, v63
	;; [unrolled: 2-line block ×4, first 2 shown]
	v_fma_f16 v61, v74, v62, -v61
	v_fma_f16 v62, v88, v63, -v77
	;; [unrolled: 1-line block ×4, first 2 shown]
	v_lshrrev_b32_e32 v48, 16, v91
	v_lshrrev_b32_e32 v65, 16, v93
	s_waitcnt vmcnt(6)
	v_mul_f16_sdwa v74, v58, v67 dst_sel:DWORD dst_unused:UNUSED_PAD src0_sel:DWORD src1_sel:WORD_1
	v_mul_f16_sdwa v90, v89, v67 dst_sel:DWORD dst_unused:UNUSED_PAD src0_sel:DWORD src1_sel:WORD_1
	v_lshrrev_b32_e32 v59, 16, v75
	v_mul_f16_sdwa v88, v48, v68 dst_sel:DWORD dst_unused:UNUSED_PAD src0_sel:DWORD src1_sel:WORD_1
	v_lshrrev_b32_e32 v101, 16, v86
	v_fma_f16 v74, v89, v67, -v74
	v_mul_f16_sdwa v89, v65, v69 dst_sel:DWORD dst_unused:UNUSED_PAD src0_sel:DWORD src1_sel:WORD_1
	v_mul_f16_sdwa v103, v59, v66 dst_sel:DWORD dst_unused:UNUSED_PAD src0_sel:DWORD src1_sel:WORD_1
	v_fma_f16 v88, v91, v68, -v88
	v_mul_f16_sdwa v91, v91, v68 dst_sel:DWORD dst_unused:UNUSED_PAD src0_sel:DWORD src1_sel:WORD_1
	v_mul_f16_sdwa v77, v75, v66 dst_sel:DWORD dst_unused:UNUSED_PAD src0_sel:DWORD src1_sel:WORD_1
	v_fma_f16 v89, v93, v69, -v89
	v_mul_f16_sdwa v93, v93, v69 dst_sel:DWORD dst_unused:UNUSED_PAD src0_sel:DWORD src1_sel:WORD_1
	v_fmac_f16_e32 v90, v58, v67
	v_fmac_f16_e32 v91, v48, v68
	s_waitcnt lgkmcnt(0)
	v_lshrrev_b32_e32 v48, 16, v54
	s_waitcnt vmcnt(5)
	v_mul_f16_sdwa v67, v101, v49 dst_sel:DWORD dst_unused:UNUSED_PAD src0_sel:DWORD src1_sel:WORD_1
	v_fmac_f16_e32 v93, v65, v69
	v_mul_f16_sdwa v65, v86, v49 dst_sel:DWORD dst_unused:UNUSED_PAD src0_sel:DWORD src1_sel:WORD_1
	v_lshrrev_b32_e32 v68, 16, v55
	s_waitcnt vmcnt(4)
	v_mul_f16_sdwa v69, v54, v96 dst_sel:DWORD dst_unused:UNUSED_PAD src0_sel:DWORD src1_sel:WORD_1
	v_fma_f16 v75, v75, v66, -v103
	v_fmac_f16_e32 v77, v59, v66
	v_lshrrev_b32_e32 v59, 16, v87
	v_lshrrev_b32_e32 v66, 16, v94
	v_fmac_f16_e32 v65, v101, v49
	v_mul_f16_sdwa v101, v48, v96 dst_sel:DWORD dst_unused:UNUSED_PAD src0_sel:DWORD src1_sel:WORD_1
	v_fma_f16 v67, v86, v49, -v67
	s_waitcnt vmcnt(3)
	v_mul_f16_sdwa v49, v68, v97 dst_sel:DWORD dst_unused:UNUSED_PAD src0_sel:DWORD src1_sel:WORD_1
	v_fmac_f16_e32 v69, v48, v96
	v_mul_f16_sdwa v48, v55, v97 dst_sel:DWORD dst_unused:UNUSED_PAD src0_sel:DWORD src1_sel:WORD_1
	v_lshrrev_b32_e32 v92, 16, v84
	v_fma_f16 v86, v54, v96, -v101
	v_lshrrev_b32_e32 v54, 16, v95
	v_fma_f16 v49, v55, v97, -v49
	s_waitcnt vmcnt(2)
	v_mul_f16_sdwa v55, v59, v98 dst_sel:DWORD dst_unused:UNUSED_PAD src0_sel:DWORD src1_sel:WORD_1
	v_mul_f16_sdwa v96, v87, v98 dst_sel:DWORD dst_unused:UNUSED_PAD src0_sel:DWORD src1_sel:WORD_1
	v_fmac_f16_e32 v48, v68, v97
	s_waitcnt vmcnt(1)
	v_mul_f16_sdwa v68, v66, v99 dst_sel:DWORD dst_unused:UNUSED_PAD src0_sel:DWORD src1_sel:WORD_1
	s_waitcnt vmcnt(0)
	v_mul_f16_sdwa v101, v95, v100 dst_sel:DWORD dst_unused:UNUSED_PAD src0_sel:DWORD src1_sel:WORD_1
	v_mul_f16_sdwa v97, v94, v99 dst_sel:DWORD dst_unused:UNUSED_PAD src0_sel:DWORD src1_sel:WORD_1
	v_fma_f16 v55, v87, v98, -v55
	v_mul_f16_sdwa v87, v54, v100 dst_sel:DWORD dst_unused:UNUSED_PAD src0_sel:DWORD src1_sel:WORD_1
	v_fmac_f16_e32 v96, v59, v98
	v_fma_f16 v59, v94, v99, -v68
	v_fmac_f16_e32 v101, v54, v100
	v_add_f16_e32 v54, v84, v82
	v_add_f16_e32 v94, v92, v107
	;; [unrolled: 1-line block ×3, first 2 shown]
	v_sub_f16_e32 v82, v82, v72
	v_add_f16_e32 v98, v110, v70
	v_add_f16_e32 v54, v54, v72
	;; [unrolled: 1-line block ×4, first 2 shown]
	v_fmac_f16_e32 v97, v66, v99
	v_add_f16_e32 v99, v70, v67
	v_sub_f16_e32 v70, v70, v67
	v_add_f16_e32 v67, v98, v67
	v_add_f16_e32 v98, v57, v102
	v_sub_f16_e32 v104, v71, v96
	v_add_f16_e32 v105, v71, v96
	v_fmac_f16_e32 v57, -0.5, v94
	v_fma_f16 v66, v95, v100, -v87
	v_add_f16_e32 v95, v107, v109
	v_add_f16_e32 v94, v79, v83
	;; [unrolled: 1-line block ×3, first 2 shown]
	v_sub_f16_e32 v102, v102, v55
	v_fmac_f16_e32 v80, -0.5, v105
	v_fmamk_f16 v105, v104, 0x3aee, v57
	v_fmac_f16_e32 v57, 0xbaee, v104
	v_lshrrev_b32_e32 v103, 16, v85
	v_fmac_f16_e32 v92, -0.5, v95
	v_add_f16_e32 v95, v85, v79
	v_sub_f16_e32 v104, v81, v73
	v_fmac_f16_e32 v85, -0.5, v94
	v_fmac_f16_e32 v110, -0.5, v99
	v_fmamk_f16 v94, v102, 0xbaee, v80
	v_fmac_f16_e32 v80, 0x3aee, v102
	v_mul_f16_e32 v99, -0.5, v57
	v_sub_f16_e32 v87, v107, v109
	v_fmamk_f16 v102, v104, 0x3aee, v85
	v_fmac_f16_e32 v85, 0xbaee, v104
	v_add_f16_e32 v107, v108, v65
	v_fmac_f16_e32 v99, 0x3aee, v80
	v_lshrrev_b32_e32 v58, 16, v4
	v_add_f16_e32 v100, v106, v108
	v_sub_f16_e32 v104, v108, v65
	v_fma_f16 v68, -0.5, v68, v84
	v_fmac_f16_e32 v106, -0.5, v107
	v_add_f16_e32 v84, v85, v99
	v_sub_f16_e32 v85, v85, v99
	v_add_f16_e32 v99, v103, v81
	v_add_f16_e32 v81, v81, v73
	;; [unrolled: 1-line block ×3, first 2 shown]
	v_fmamk_f16 v107, v87, 0x3aee, v68
	v_fmac_f16_e32 v68, 0xbaee, v87
	v_fmamk_f16 v87, v82, 0xbaee, v92
	v_fmac_f16_e32 v92, 0x3aee, v82
	v_fmamk_f16 v82, v104, 0x3aee, v110
	v_fmac_f16_e32 v110, 0xbaee, v104
	v_fmamk_f16 v104, v70, 0xbaee, v106
	v_fmac_f16_e32 v106, 0x3aee, v70
	v_add_f16_e32 v70, v54, v67
	v_sub_f16_e32 v67, v54, v67
	v_add_f16_e32 v54, v4, v62
	v_fmac_f16_e32 v103, -0.5, v81
	v_add_f16_e32 v81, v58, v76
	v_lshrrev_b32_e32 v100, 16, v5
	v_sub_f16_e32 v79, v79, v83
	v_add_f16_e32 v108, v72, v65
	v_sub_f16_e32 v65, v72, v65
	v_add_f16_e32 v72, v95, v83
	v_add_f16_e32 v83, v62, v64
	v_sub_f16_e32 v95, v76, v56
	v_add_f16_e32 v76, v76, v56
	v_sub_f16_e32 v62, v62, v64
	v_add_f16_e32 v55, v98, v55
	v_add_f16_e32 v98, v61, v63
	v_add_f16_e32 v71, v71, v96
	v_add_f16_e32 v96, v63, v59
	v_add_f16_e32 v54, v54, v64
	v_sub_f16_e32 v64, v78, v97
	v_add_f16_e32 v56, v81, v56
	v_add_f16_e32 v81, v60, v78
	;; [unrolled: 1-line block ×4, first 2 shown]
	v_sub_f16_e32 v63, v63, v59
	v_fmac_f16_e32 v58, -0.5, v76
	v_add_f16_e32 v59, v98, v59
	v_add_f16_e32 v98, v74, v89
	v_fmac_f16_e32 v61, -0.5, v96
	v_sub_f16_e32 v96, v90, v93
	v_add_f16_e32 v81, v81, v97
	v_add_f16_e32 v97, v100, v90
	v_add_f16_e32 v90, v90, v93
	v_fmac_f16_e32 v60, -0.5, v78
	v_add_f16_e32 v78, v88, v66
	v_add_f16_e32 v76, v5, v74
	v_fmac_f16_e32 v5, -0.5, v98
	v_add_f16_e32 v98, v75, v88
	v_fmac_f16_e32 v100, -0.5, v90
	v_sub_f16_e32 v90, v91, v101
	v_fma_f16 v4, -0.5, v83, v4
	v_fmac_f16_e32 v75, -0.5, v78
	v_add_f16_e32 v83, v73, v71
	v_sub_f16_e32 v71, v73, v71
	v_fmamk_f16 v73, v62, 0xbaee, v58
	v_fmac_f16_e32 v58, 0x3aee, v62
	v_fmamk_f16 v62, v64, 0x3aee, v61
	v_fmac_f16_e32 v61, 0xbaee, v64
	;; [unrolled: 2-line block ×3, first 2 shown]
	v_add_f16_e32 v63, v54, v59
	v_sub_f16_e32 v59, v54, v59
	v_mul_f16_e32 v54, 0x3aee, v104
	v_fmamk_f16 v78, v79, 0xbaee, v103
	v_fmac_f16_e32 v103, 0x3aee, v79
	v_add_f16_e32 v79, v72, v55
	v_sub_f16_e32 v72, v72, v55
	v_fmamk_f16 v55, v95, 0x3aee, v4
	v_fmac_f16_e32 v4, 0xbaee, v95
	v_add_f16_e32 v95, v56, v81
	v_sub_f16_e32 v56, v56, v81
	v_fmamk_f16 v81, v96, 0x3aee, v5
	v_fmac_f16_e32 v5, 0xbaee, v96
	v_fmamk_f16 v96, v90, 0x3aee, v75
	v_fmac_f16_e32 v75, 0xbaee, v90
	v_fmac_f16_e32 v54, 0.5, v82
	v_mul_f16_e32 v82, 0xbaee, v82
	v_mul_f16_e32 v90, -0.5, v110
	v_mul_f16_e32 v99, -0.5, v106
	;; [unrolled: 1-line block ×3, first 2 shown]
	v_sub_f16_e32 v74, v74, v89
	v_fmac_f16_e32 v82, 0.5, v104
	v_fmac_f16_e32 v90, 0x3aee, v106
	v_fmac_f16_e32 v99, 0xbaee, v110
	v_add_f16_e32 v104, v107, v54
	v_sub_f16_e32 v106, v107, v54
	v_mul_f16_e32 v54, 0x3aee, v94
	v_add_f16_e32 v107, v68, v90
	v_sub_f16_e32 v68, v68, v90
	v_add_f16_e32 v90, v87, v82
	v_sub_f16_e32 v82, v87, v82
	;; [unrolled: 2-line block ×3, first 2 shown]
	v_mul_f16_e32 v99, 0xbaee, v105
	v_fmac_f16_e32 v80, 0xbaee, v57
	v_mul_f16_e32 v57, -0.5, v61
	v_fmac_f16_e32 v54, 0.5, v105
	v_add_f16_e32 v76, v76, v89
	v_fmac_f16_e32 v99, 0.5, v94
	v_mul_f16_e32 v94, 0x3aee, v64
	v_fmac_f16_e32 v57, 0x3aee, v60
	v_mul_f16_e32 v60, -0.5, v60
	v_add_f16_e32 v89, v97, v93
	v_add_f16_e32 v105, v78, v99
	v_fmac_f16_e32 v94, 0.5, v62
	v_mul_f16_e32 v62, 0xbaee, v62
	v_fmac_f16_e32 v60, 0xbaee, v61
	v_add_f16_e32 v61, v102, v54
	v_sub_f16_e32 v102, v102, v54
	v_sub_f16_e32 v78, v78, v99
	v_fmac_f16_e32 v62, 0.5, v64
	v_add_f16_e32 v64, v91, v101
	v_add_f16_e32 v99, v103, v80
	v_sub_f16_e32 v80, v103, v80
	v_add_f16_e32 v103, v55, v94
	v_sub_f16_e32 v94, v55, v94
	;; [unrolled: 2-line block ×5, first 2 shown]
	v_add_f16_e32 v60, v77, v91
	v_fmac_f16_e32 v77, -0.5, v64
	ds_read2_b32 v[54:55], v37 offset0:112 offset1:172
	v_sub_f16_e32 v64, v88, v66
	v_fmamk_f16 v91, v74, 0xbaee, v100
	v_fmac_f16_e32 v100, 0x3aee, v74
	v_add_f16_e32 v66, v98, v66
	v_add_f16_e32 v60, v60, v101
	v_fmamk_f16 v88, v64, 0xbaee, v77
	v_fmac_f16_e32 v77, 0x3aee, v64
	v_mul_f16_e32 v64, -0.5, v75
	v_pack_b32_f16 v65, v67, v65
	s_waitcnt lgkmcnt(0)
	v_mul_f16_e32 v74, 0x3aee, v88
	s_barrier
	v_fmac_f16_e32 v64, 0x3aee, v77
	v_mul_f16_e32 v77, -0.5, v77
	buffer_gl0_inv
	v_fmac_f16_e32 v74, 0.5, v96
	v_mul_f16_e32 v96, 0xbaee, v96
	v_add_f16_e32 v97, v5, v64
	v_fmac_f16_e32 v77, 0xbaee, v75
	v_add_f16_e32 v75, v50, v52
	v_lshrrev_b32_e32 v93, 16, v54
	v_add_f16_e32 v98, v81, v74
	v_fmac_f16_e32 v96, 0.5, v88
	v_sub_f16_e32 v74, v81, v74
	v_fma_f16 v75, -0.5, v75, v54
	v_sub_f16_e32 v81, v51, v53
	v_sub_f16_e32 v5, v5, v64
	v_add_f16_e32 v64, v76, v66
	v_sub_f16_e32 v66, v76, v66
	v_add_f16_e32 v76, v91, v96
	v_sub_f16_e32 v91, v91, v96
	v_fmamk_f16 v96, v81, 0x3aee, v75
	v_fmac_f16_e32 v75, 0xbaee, v81
	v_add_f16_e32 v81, v93, v51
	v_add_f16_e32 v51, v51, v53
	;; [unrolled: 1-line block ×3, first 2 shown]
	v_sub_f16_e32 v50, v50, v52
	v_add_f16_e32 v88, v89, v60
	v_add_f16_e32 v53, v81, v53
	;; [unrolled: 1-line block ×3, first 2 shown]
	v_fmac_f16_e32 v93, -0.5, v51
	v_add_f16_e32 v51, v46, v69
	v_add_f16_e32 v54, v54, v52
	;; [unrolled: 1-line block ×3, first 2 shown]
	v_fmac_f16_e32 v45, -0.5, v81
	v_sub_f16_e32 v81, v46, v69
	v_add_f16_e32 v46, v44, v46
	v_fmac_f16_e32 v44, -0.5, v51
	v_sub_f16_e32 v47, v47, v86
	v_fmamk_f16 v51, v50, 0xbaee, v93
	v_fmac_f16_e32 v93, 0x3aee, v50
	v_fmamk_f16 v50, v81, 0x3aee, v45
	v_fmac_f16_e32 v45, 0xbaee, v81
	v_fmamk_f16 v81, v47, 0xbaee, v44
	v_add_f16_e32 v52, v52, v86
	v_fmac_f16_e32 v44, 0x3aee, v47
	v_add_f16_e32 v46, v46, v69
	v_mul_f16_e32 v47, -0.5, v45
	v_mul_f16_e32 v86, 0x3aee, v81
	v_mul_f16_e32 v69, 0xbaee, v50
	v_sub_f16_e32 v60, v89, v60
	v_add_f16_e32 v89, v100, v77
	v_fmac_f16_e32 v47, 0x3aee, v44
	v_fmac_f16_e32 v86, 0.5, v50
	v_mul_f16_e32 v50, -0.5, v44
	v_lshrrev_b32_e32 v44, 16, v55
	v_fmac_f16_e32 v69, 0.5, v81
	v_sub_f16_e32 v77, v100, v77
	v_add_f16_e32 v81, v54, v52
	v_fmac_f16_e32 v50, 0xbaee, v45
	v_add_f16_e32 v45, v96, v86
	v_sub_f16_e32 v86, v96, v86
	v_add_f16_e32 v96, v53, v46
	v_sub_f16_e32 v46, v53, v46
	;; [unrolled: 2-line block ×6, first 2 shown]
	v_add_f16_e32 v93, v55, v41
	v_fmac_f16_e32 v55, -0.5, v53
	v_add_f16_e32 v53, v42, v40
	v_add_f16_e32 v100, v44, v42
	v_sub_f16_e32 v42, v42, v40
	v_sub_f16_e32 v41, v41, v43
	v_pack_b32_f16 v61, v61, v105
	v_fmac_f16_e32 v44, -0.5, v53
	v_add_f16_e32 v53, v93, v43
	v_fmamk_f16 v43, v42, 0x3aee, v55
	v_fmac_f16_e32 v55, 0xbaee, v42
	v_add_f16_e32 v42, v30, v49
	v_fmamk_f16 v93, v41, 0xbaee, v44
	v_fmac_f16_e32 v44, 0x3aee, v41
	v_add_f16_e32 v41, v28, v30
	v_add_f16_e32 v40, v100, v40
	v_fmac_f16_e32 v28, -0.5, v42
	v_add_f16_e32 v42, v31, v48
	v_add_f16_e32 v100, v29, v31
	v_sub_f16_e32 v31, v31, v48
	v_sub_f16_e32 v30, v30, v49
	v_add_f16_e32 v41, v41, v49
	v_fmac_f16_e32 v29, -0.5, v42
	v_add_f16_e32 v48, v100, v48
	v_fmamk_f16 v42, v31, 0x3aee, v28
	v_fmac_f16_e32 v28, 0xbaee, v31
	v_mov_b32_e32 v100, 2
	v_fmamk_f16 v31, v30, 0xbaee, v29
	v_fmac_f16_e32 v29, 0x3aee, v30
	v_pack_b32_f16 v67, v72, v71
	v_mul_f16_e32 v30, -0.5, v28
	v_lshlrev_b32_sdwa v21, v100, v21 dst_sel:DWORD dst_unused:UNUSED_PAD src0_sel:DWORD src1_sel:BYTE_0
	v_mul_f16_e32 v49, 0x3aee, v31
	v_lshlrev_b32_sdwa v27, v100, v27 dst_sel:DWORD dst_unused:UNUSED_PAD src0_sel:DWORD src1_sel:BYTE_0
	v_pack_b32_f16 v56, v59, v56
	v_fmac_f16_e32 v30, 0x3aee, v29
	v_mul_f16_e32 v29, -0.5, v29
	v_fmac_f16_e32 v49, 0.5, v42
	v_mul_f16_e32 v42, 0xbaee, v42
	v_pack_b32_f16 v4, v4, v58
	v_lshlrev_b32_sdwa v23, v100, v23 dst_sel:DWORD dst_unused:UNUSED_PAD src0_sel:DWORD src1_sel:BYTE_0
	v_fmac_f16_e32 v29, 0xbaee, v28
	v_add_f16_e32 v28, v43, v49
	v_fmac_f16_e32 v42, 0.5, v31
	v_add_f16_e32 v31, v53, v41
	v_sub_f16_e32 v41, v53, v41
	v_add_f16_e32 v53, v55, v30
	v_sub_f16_e32 v30, v55, v30
	v_mov_b32_e32 v55, 0xf0
	v_sub_f16_e32 v43, v43, v49
	v_add_f16_e32 v49, v40, v48
	v_sub_f16_e32 v40, v40, v48
	v_add_f16_e32 v48, v93, v42
	v_mul_u32_u24_sdwa v12, v12, v55 dst_sel:DWORD dst_unused:UNUSED_PAD src0_sel:WORD_0 src1_sel:DWORD
	v_sub_f16_e32 v42, v93, v42
	v_add_f16_e32 v93, v44, v29
	v_sub_f16_e32 v29, v44, v29
	v_pack_b32_f16 v44, v104, v90
	v_add3_u32 v12, 0, v12, v21
	v_pack_b32_f16 v21, v70, v108
	v_pack_b32_f16 v70, v107, v87
	v_mul_u32_u24_sdwa v26, v26, v55 dst_sel:DWORD dst_unused:UNUSED_PAD src0_sel:WORD_0 src1_sel:DWORD
	ds_write2_b32 v12, v21, v44 offset1:10
	ds_write2_b32 v12, v70, v65 offset0:20 offset1:30
	v_pack_b32_f16 v21, v106, v82
	v_pack_b32_f16 v44, v68, v92
	v_add3_u32 v26, 0, v26, v27
	v_pack_b32_f16 v27, v79, v83
	v_pack_b32_f16 v65, v84, v99
	v_mul_u32_u24_sdwa v22, v22, v55 dst_sel:DWORD dst_unused:UNUSED_PAD src0_sel:WORD_0 src1_sel:DWORD
	ds_write2_b32 v12, v21, v44 offset0:40 offset1:50
	v_mul_u32_u24_sdwa v12, v24, v55 dst_sel:DWORD dst_unused:UNUSED_PAD src0_sel:WORD_0 src1_sel:DWORD
	v_lshlrev_b32_sdwa v21, v100, v25 dst_sel:DWORD dst_unused:UNUSED_PAD src0_sel:DWORD src1_sel:BYTE_0
	ds_write2_b32 v26, v27, v61 offset1:10
	ds_write2_b32 v26, v65, v67 offset0:20 offset1:30
	v_pack_b32_f16 v24, v102, v78
	v_pack_b32_f16 v25, v85, v80
	;; [unrolled: 1-line block ×3, first 2 shown]
	v_add3_u32 v12, 0, v12, v21
	v_pack_b32_f16 v21, v63, v95
	v_pack_b32_f16 v44, v109, v73
	ds_write2_b32 v26, v24, v25 offset0:40 offset1:50
	ds_write2_b32 v12, v21, v27 offset1:10
	ds_write2_b32 v12, v44, v56 offset0:20 offset1:30
	v_pack_b32_f16 v21, v94, v62
	v_add3_u32 v22, 0, v22, v23
	v_pack_b32_f16 v23, v64, v88
	v_pack_b32_f16 v24, v98, v76
	;; [unrolled: 1-line block ×3, first 2 shown]
	ds_write2_b32 v12, v21, v4 offset0:40 offset1:50
	v_mul_u32_u24_e32 v4, 0xf0, v17
	v_lshlrev_b32_sdwa v12, v100, v18 dst_sel:DWORD dst_unused:UNUSED_PAD src0_sel:DWORD src1_sel:WORD_0
	v_pack_b32_f16 v17, v74, v91
	v_pack_b32_f16 v25, v97, v89
	;; [unrolled: 1-line block ×4, first 2 shown]
	v_add3_u32 v4, 0, v4, v12
	v_pack_b32_f16 v12, v81, v96
	ds_write2_b32 v22, v23, v24 offset1:10
	ds_write2_b32 v22, v25, v26 offset0:20 offset1:30
	v_pack_b32_f16 v21, v54, v69
	v_pack_b32_f16 v23, v52, v46
	ds_write2_b32 v22, v17, v5 offset0:40 offset1:50
	v_mul_u32_u24_e32 v5, 0xf0, v19
	v_lshlrev_b32_sdwa v17, v100, v20 dst_sel:DWORD dst_unused:UNUSED_PAD src0_sel:DWORD src1_sel:WORD_0
	ds_write2_b32 v4, v12, v18 offset1:10
	ds_write2_b32 v4, v21, v23 offset0:20 offset1:30
	v_pack_b32_f16 v12, v86, v51
	v_pack_b32_f16 v18, v47, v50
	;; [unrolled: 1-line block ×3, first 2 shown]
	v_add3_u32 v5, 0, v5, v17
	v_pack_b32_f16 v17, v31, v49
	v_pack_b32_f16 v20, v53, v93
	;; [unrolled: 1-line block ×3, first 2 shown]
	ds_write2_b32 v4, v12, v18 offset0:40 offset1:50
	ds_write2_b32 v5, v17, v19 offset1:10
	ds_write2_b32 v5, v20, v21 offset0:20 offset1:30
	v_mul_lo_u16 v4, 0x89, v16
	v_pack_b32_f16 v22, v43, v42
	v_pack_b32_f16 v24, v30, v29
	v_mul_u32_u24_e32 v23, 5, v0
	v_lshrrev_b16 v4, 13, v4
	ds_write2_b32 v5, v22, v24 offset0:40 offset1:50
	v_mul_lo_u16 v5, 0x89, v14
	v_lshlrev_b32_e32 v12, 2, v23
	v_mul_lo_u16 v4, v4, 60
	s_waitcnt lgkmcnt(0)
	s_barrier
	buffer_gl0_inv
	global_load_dwordx4 v[17:20], v12, s[8:9] offset:200
	v_sub_nc_u16 v4, v15, v4
	v_mov_b32_e32 v15, 0x8889
	global_load_dword v31, v12, s[8:9] offset:216
	v_and_b32_e32 v14, 0xff, v4
	v_lshrrev_b16 v4, 13, v5
	v_mul_u32_u24_sdwa v16, v6, v15 dst_sel:DWORD dst_unused:UNUSED_PAD src0_sel:WORD_0 src1_sel:DWORD
	v_mul_u32_u24_sdwa v15, v7, v15 dst_sel:DWORD dst_unused:UNUSED_PAD src0_sel:WORD_0 src1_sel:DWORD
	v_mul_u32_u24_e32 v5, 5, v14
	v_mul_lo_u16 v4, v4, 60
	v_lshrrev_b32_e32 v16, 21, v16
	v_lshl_add_u32 v14, v14, 2, 0
	v_lshlrev_b32_e32 v5, 2, v5
	v_sub_nc_u16 v4, v13, v4
	v_mul_lo_u16 v16, v16, 60
	s_clause 0x1
	global_load_dwordx4 v[21:24], v5, s[8:9] offset:200
	global_load_dword v78, v5, s[8:9] offset:216
	v_and_b32_e32 v13, 0xff, v4
	v_sub_nc_u16 v6, v6, v16
	v_mul_u32_u24_e32 v4, 5, v13
	v_and_b32_e32 v16, 0xffff, v6
	v_lshrrev_b32_e32 v6, 21, v15
	v_lshl_add_u32 v13, v13, 2, 0
	v_lshlrev_b32_e32 v4, 2, v4
	v_mul_u32_u24_e32 v15, 5, v16
	v_mul_lo_u16 v5, v6, 60
	v_lshl_add_u32 v16, v16, 2, 0
	s_clause 0x1
	global_load_dwordx4 v[25:28], v4, s[8:9] offset:200
	global_load_dword v79, v4, s[8:9] offset:216
	v_sub_nc_u16 v4, v7, v5
	v_lshlrev_b32_e32 v6, 2, v15
	v_and_b32_e32 v15, 0xffff, v4
	global_load_dwordx4 v[40:43], v6, s[8:9] offset:200
	v_mul_u32_u24_e32 v4, 5, v15
	v_lshlrev_b32_e32 v4, 2, v4
	s_clause 0x2
	global_load_dword v80, v6, s[8:9] offset:216
	global_load_dwordx4 v[44:47], v4, s[8:9] offset:200
	global_load_dword v81, v4, s[8:9] offset:216
	ds_read2_b32 v[29:30], v32 offset1:60
	ds_read2_b32 v[48:49], v38 offset0:56 offset1:116
	ds_read2_b32 v[50:51], v33 offset0:160 offset1:220
	;; [unrolled: 1-line block ×17, first 2 shown]
	s_waitcnt vmcnt(0) lgkmcnt(0)
	s_barrier
	v_lshrrev_b32_e32 v82, 16, v29
	v_lshrrev_b32_e32 v83, 16, v48
	;; [unrolled: 1-line block ×18, first 2 shown]
	buffer_gl0_inv
	v_mul_f16_sdwa v100, v17, v95 dst_sel:DWORD dst_unused:UNUSED_PAD src0_sel:WORD_1 src1_sel:DWORD
	v_mul_f16_sdwa v102, v18, v97 dst_sel:DWORD dst_unused:UNUSED_PAD src0_sel:WORD_1 src1_sel:DWORD
	v_mul_f16_sdwa v105, v87, v17 dst_sel:DWORD dst_unused:UNUSED_PAD src0_sel:DWORD src1_sel:WORD_1
	v_mul_f16_sdwa v108, v88, v18 dst_sel:DWORD dst_unused:UNUSED_PAD src0_sel:DWORD src1_sel:WORD_1
	v_mul_f16_sdwa v101, v17, v54 dst_sel:DWORD dst_unused:UNUSED_PAD src0_sel:WORD_1 src1_sel:DWORD
	v_mul_f16_sdwa v103, v18, v56 dst_sel:DWORD dst_unused:UNUSED_PAD src0_sel:WORD_1 src1_sel:DWORD
	v_mul_f16_sdwa v104, v83, v19 dst_sel:DWORD dst_unused:UNUSED_PAD src0_sel:DWORD src1_sel:WORD_1
	v_mul_f16_sdwa v107, v84, v20 dst_sel:DWORD dst_unused:UNUSED_PAD src0_sel:DWORD src1_sel:WORD_1
	v_fma_f16 v54, v17, v54, -v100
	v_fma_f16 v100, v55, v17, -v105
	v_mul_f16_sdwa v105, v89, v19 dst_sel:DWORD dst_unused:UNUSED_PAD src0_sel:DWORD src1_sel:WORD_1
	v_fma_f16 v56, v18, v56, -v102
	v_fma_f16 v102, v57, v18, -v108
	v_mul_f16_sdwa v108, v90, v20 dst_sel:DWORD dst_unused:UNUSED_PAD src0_sel:DWORD src1_sel:WORD_1
	v_mul_f16_sdwa v106, v48, v19 dst_sel:DWORD dst_unused:UNUSED_PAD src0_sel:DWORD src1_sel:WORD_1
	;; [unrolled: 1-line block ×3, first 2 shown]
	v_fma_f16 v48, v48, v19, -v104
	v_fma_f16 v104, v49, v19, -v105
	v_mul_f16_sdwa v49, v49, v19 dst_sel:DWORD dst_unused:UNUSED_PAD src0_sel:DWORD src1_sel:WORD_1
	v_mul_f16_sdwa v105, v50, v20 dst_sel:DWORD dst_unused:UNUSED_PAD src0_sel:DWORD src1_sel:WORD_1
	v_fma_f16 v50, v50, v20, -v107
	v_fma_f16 v107, v51, v20, -v108
	v_mul_f16_sdwa v51, v51, v20 dst_sel:DWORD dst_unused:UNUSED_PAD src0_sel:DWORD src1_sel:WORD_1
	v_mul_f16_sdwa v55, v55, v17 dst_sel:DWORD dst_unused:UNUSED_PAD src0_sel:DWORD src1_sel:WORD_1
	v_fmac_f16_e32 v57, v88, v18
	v_fmac_f16_e32 v49, v89, v19
	v_mul_f16_sdwa v88, v58, v21 dst_sel:DWORD dst_unused:UNUSED_PAD src0_sel:DWORD src1_sel:WORD_1
	v_fmac_f16_e32 v51, v90, v20
	v_mul_f16_sdwa v89, v60, v22 dst_sel:DWORD dst_unused:UNUSED_PAD src0_sel:DWORD src1_sel:WORD_1
	v_mul_f16_sdwa v90, v62, v23 dst_sel:DWORD dst_unused:UNUSED_PAD src0_sel:DWORD src1_sel:WORD_1
	v_fmac_f16_e32 v101, v17, v95
	v_lshrrev_b32_e32 v95, 16, v59
	v_fmac_f16_e32 v103, v18, v97
	v_lshrrev_b32_e32 v97, 16, v61
	v_fmac_f16_e32 v105, v84, v20
	v_fmac_f16_e32 v55, v87, v17
	v_mul_f16_sdwa v17, v93, v21 dst_sel:DWORD dst_unused:UNUSED_PAD src0_sel:DWORD src1_sel:WORD_1
	v_mul_f16_sdwa v20, v94, v22 dst_sel:DWORD dst_unused:UNUSED_PAD src0_sel:DWORD src1_sel:WORD_1
	v_fmac_f16_e32 v88, v93, v21
	v_fmac_f16_e32 v89, v94, v22
	v_mul_f16_sdwa v93, v96, v23 dst_sel:DWORD dst_unused:UNUSED_PAD src0_sel:DWORD src1_sel:WORD_1
	v_fmac_f16_e32 v90, v96, v23
	v_mul_f16_sdwa v94, v98, v24 dst_sel:DWORD dst_unused:UNUSED_PAD src0_sel:DWORD src1_sel:WORD_1
	v_mul_f16_sdwa v96, v64, v24 dst_sel:DWORD dst_unused:UNUSED_PAD src0_sel:DWORD src1_sel:WORD_1
	v_fmac_f16_e32 v106, v83, v19
	v_lshrrev_b32_e32 v83, 16, v63
	v_lshrrev_b32_e32 v84, 16, v65
	v_fma_f16 v21, v58, v21, -v17
	v_fma_f16 v23, v62, v23, -v93
	;; [unrolled: 1-line block ×3, first 2 shown]
	v_fmac_f16_e32 v96, v98, v24
	v_mul_f16_sdwa v17, v95, v25 dst_sel:DWORD dst_unused:UNUSED_PAD src0_sel:DWORD src1_sel:WORD_1
	v_mul_f16_sdwa v24, v59, v25 dst_sel:DWORD dst_unused:UNUSED_PAD src0_sel:DWORD src1_sel:WORD_1
	;; [unrolled: 1-line block ×3, first 2 shown]
	v_lshrrev_b32_e32 v87, 16, v67
	v_lshrrev_b32_e32 v19, 16, v68
	v_fma_f16 v59, v59, v25, -v17
	v_fmac_f16_e32 v24, v95, v25
	v_mul_f16_sdwa v17, v83, v27 dst_sel:DWORD dst_unused:UNUSED_PAD src0_sel:DWORD src1_sel:WORD_1
	v_fma_f16 v25, v61, v26, -v62
	v_mul_f16_sdwa v62, v84, v28 dst_sel:DWORD dst_unused:UNUSED_PAD src0_sel:DWORD src1_sel:WORD_1
	v_mul_f16_sdwa v61, v61, v26 dst_sel:DWORD dst_unused:UNUSED_PAD src0_sel:DWORD src1_sel:WORD_1
	v_fma_f16 v22, v60, v22, -v20
	v_fma_f16 v94, v63, v27, -v17
	v_mul_f16_sdwa v63, v63, v27 dst_sel:DWORD dst_unused:UNUSED_PAD src0_sel:DWORD src1_sel:WORD_1
	v_fma_f16 v62, v65, v28, -v62
	v_mul_f16_sdwa v65, v65, v28 dst_sel:DWORD dst_unused:UNUSED_PAD src0_sel:DWORD src1_sel:WORD_1
	v_fmac_f16_e32 v61, v97, v26
	v_mul_f16_sdwa v97, v91, v31 dst_sel:DWORD dst_unused:UNUSED_PAD src0_sel:DWORD src1_sel:WORD_1
	v_fmac_f16_e32 v63, v83, v27
	;; [unrolled: 2-line block ×3, first 2 shown]
	v_mul_f16_sdwa v28, v52, v31 dst_sel:DWORD dst_unused:UNUSED_PAD src0_sel:DWORD src1_sel:WORD_1
	v_lshrrev_b32_e32 v20, 16, v70
	v_lshrrev_b32_e32 v60, 16, v72
	v_fma_f16 v27, v52, v31, -v27
	v_mul_f16_sdwa v52, v53, v31 dst_sel:DWORD dst_unused:UNUSED_PAD src0_sel:DWORD src1_sel:WORD_1
	v_fmac_f16_e32 v28, v85, v31
	v_mul_f16_sdwa v85, v99, v78 dst_sel:DWORD dst_unused:UNUSED_PAD src0_sel:DWORD src1_sel:WORD_1
	v_fma_f16 v53, v53, v31, -v97
	v_mul_f16_sdwa v97, v66, v78 dst_sel:DWORD dst_unused:UNUSED_PAD src0_sel:DWORD src1_sel:WORD_1
	v_fmac_f16_e32 v52, v91, v31
	v_lshrrev_b32_e32 v64, 16, v74
	v_fma_f16 v31, v66, v78, -v85
	v_mul_f16_sdwa v66, v87, v79 dst_sel:DWORD dst_unused:UNUSED_PAD src0_sel:DWORD src1_sel:WORD_1
	v_fmac_f16_e32 v97, v99, v78
	v_mul_f16_sdwa v78, v67, v79 dst_sel:DWORD dst_unused:UNUSED_PAD src0_sel:DWORD src1_sel:WORD_1
	v_mul_f16_sdwa v85, v19, v40 dst_sel:DWORD dst_unused:UNUSED_PAD src0_sel:DWORD src1_sel:WORD_1
	;; [unrolled: 1-line block ×3, first 2 shown]
	v_fma_f16 v66, v67, v79, -v66
	v_mul_f16_sdwa v67, v20, v41 dst_sel:DWORD dst_unused:UNUSED_PAD src0_sel:DWORD src1_sel:WORD_1
	v_lshrrev_b32_e32 v93, 16, v76
	v_lshrrev_b32_e32 v95, 16, v69
	;; [unrolled: 1-line block ×3, first 2 shown]
	v_fmac_f16_e32 v78, v87, v79
	v_fma_f16 v68, v68, v40, -v85
	v_fmac_f16_e32 v91, v19, v40
	v_mul_f16_sdwa v40, v70, v41 dst_sel:DWORD dst_unused:UNUSED_PAD src0_sel:DWORD src1_sel:WORD_1
	v_fma_f16 v67, v70, v41, -v67
	v_mul_f16_sdwa v19, v60, v42 dst_sel:DWORD dst_unused:UNUSED_PAD src0_sel:DWORD src1_sel:WORD_1
	v_mul_f16_sdwa v70, v72, v42 dst_sel:DWORD dst_unused:UNUSED_PAD src0_sel:DWORD src1_sel:WORD_1
	;; [unrolled: 1-line block ×3, first 2 shown]
	v_lshrrev_b32_e32 v83, 16, v73
	v_lshrrev_b32_e32 v84, 16, v75
	v_fmac_f16_e32 v40, v20, v41
	v_mul_f16_sdwa v41, v74, v43 dst_sel:DWORD dst_unused:UNUSED_PAD src0_sel:DWORD src1_sel:WORD_1
	v_fma_f16 v72, v72, v42, -v19
	v_fmac_f16_e32 v70, v60, v42
	v_fma_f16 v42, v74, v43, -v79
	v_mul_f16_sdwa v19, v93, v80 dst_sel:DWORD dst_unused:UNUSED_PAD src0_sel:DWORD src1_sel:WORD_1
	v_mul_f16_sdwa v60, v95, v44 dst_sel:DWORD dst_unused:UNUSED_PAD src0_sel:DWORD src1_sel:WORD_1
	;; [unrolled: 1-line block ×4, first 2 shown]
	v_fmac_f16_e32 v41, v64, v43
	v_fma_f16 v64, v76, v80, -v19
	v_fma_f16 v19, v69, v44, -v60
	v_fmac_f16_e32 v20, v95, v44
	v_mul_f16_sdwa v44, v71, v45 dst_sel:DWORD dst_unused:UNUSED_PAD src0_sel:DWORD src1_sel:WORD_1
	v_fma_f16 v60, v71, v45, -v74
	v_mul_f16_sdwa v69, v83, v46 dst_sel:DWORD dst_unused:UNUSED_PAD src0_sel:DWORD src1_sel:WORD_1
	v_mul_f16_sdwa v71, v73, v46 dst_sel:DWORD dst_unused:UNUSED_PAD src0_sel:DWORD src1_sel:WORD_1
	;; [unrolled: 1-line block ×3, first 2 shown]
	v_lshrrev_b32_e32 v98, 16, v77
	v_fmac_f16_e32 v44, v26, v45
	v_mul_f16_sdwa v26, v75, v47 dst_sel:DWORD dst_unused:UNUSED_PAD src0_sel:DWORD src1_sel:WORD_1
	v_fma_f16 v45, v73, v46, -v69
	v_fmac_f16_e32 v71, v83, v46
	v_fma_f16 v46, v75, v47, -v74
	v_add_f16_e32 v74, v29, v56
	v_mul_f16_sdwa v43, v76, v80 dst_sel:DWORD dst_unused:UNUSED_PAD src0_sel:DWORD src1_sel:WORD_1
	v_add_f16_e32 v69, v56, v50
	v_fmac_f16_e32 v26, v84, v47
	v_mul_f16_sdwa v47, v98, v81 dst_sel:DWORD dst_unused:UNUSED_PAD src0_sel:DWORD src1_sel:WORD_1
	v_add_f16_e32 v75, v103, v105
	v_add_f16_e32 v74, v74, v50
	;; [unrolled: 1-line block ×3, first 2 shown]
	v_sub_f16_e32 v50, v56, v50
	v_add_f16_e32 v56, v106, v28
	v_fmac_f16_e32 v43, v93, v80
	v_mul_f16_sdwa v73, v77, v81 dst_sel:DWORD dst_unused:UNUSED_PAD src0_sel:DWORD src1_sel:WORD_1
	v_fma_f16 v47, v77, v81, -v47
	v_add_f16_e32 v77, v82, v103
	v_fmac_f16_e32 v82, -0.5, v75
	v_add_f16_e32 v75, v54, v48
	v_fmac_f16_e32 v54, -0.5, v79
	v_sub_f16_e32 v79, v106, v28
	v_add_f16_e32 v80, v101, v106
	v_fmac_f16_e32 v101, -0.5, v56
	v_sub_f16_e32 v48, v48, v27
	v_fma_f16 v29, -0.5, v69, v29
	v_sub_f16_e32 v69, v103, v105
	v_fmac_f16_e32 v73, v98, v81
	v_add_f16_e32 v56, v77, v105
	v_fmamk_f16 v77, v79, 0x3aee, v54
	v_fmamk_f16 v81, v48, 0xbaee, v101
	v_fmac_f16_e32 v54, 0xbaee, v79
	v_fmac_f16_e32 v101, 0x3aee, v48
	v_fmamk_f16 v76, v69, 0x3aee, v29
	v_fmac_f16_e32 v29, 0xbaee, v69
	v_fmamk_f16 v69, v50, 0xbaee, v82
	v_fmac_f16_e32 v82, 0x3aee, v50
	v_add_f16_e32 v27, v75, v27
	v_mul_f16_e32 v48, 0x3aee, v81
	v_mul_f16_e32 v50, -0.5, v54
	v_mul_f16_e32 v79, -0.5, v101
	v_mul_f16_e32 v75, 0xbaee, v77
	v_add_f16_e32 v28, v80, v28
	v_fmac_f16_e32 v48, 0.5, v77
	v_fmac_f16_e32 v50, 0x3aee, v101
	v_add_f16_e32 v77, v74, v27
	v_fmac_f16_e32 v79, 0xbaee, v54
	v_sub_f16_e32 v27, v74, v27
	v_add_f16_e32 v74, v102, v107
	v_fmac_f16_e32 v75, 0.5, v81
	v_add_f16_e32 v80, v29, v50
	v_add_f16_e32 v84, v82, v79
	v_sub_f16_e32 v29, v29, v50
	v_add_f16_e32 v50, v30, v102
	v_fmac_f16_e32 v30, -0.5, v74
	v_sub_f16_e32 v74, v82, v79
	v_add_f16_e32 v79, v104, v53
	v_add_f16_e32 v82, v49, v52
	;; [unrolled: 1-line block ×4, first 2 shown]
	v_sub_f16_e32 v28, v56, v28
	v_sub_f16_e32 v56, v57, v51
	;; [unrolled: 1-line block ×3, first 2 shown]
	v_add_f16_e32 v75, v57, v51
	v_add_f16_e32 v57, v86, v57
	;; [unrolled: 1-line block ×3, first 2 shown]
	v_fmac_f16_e32 v100, -0.5, v79
	v_sub_f16_e32 v79, v49, v52
	v_add_f16_e32 v49, v55, v49
	v_fmac_f16_e32 v55, -0.5, v82
	v_sub_f16_e32 v82, v104, v53
	v_fmac_f16_e32 v86, -0.5, v75
	v_sub_f16_e32 v75, v102, v107
	v_add_f16_e32 v51, v57, v51
	v_fmamk_f16 v57, v79, 0x3aee, v100
	v_fmamk_f16 v87, v82, 0xbaee, v55
	v_fmac_f16_e32 v55, 0x3aee, v82
	v_add_f16_e32 v54, v76, v48
	v_sub_f16_e32 v48, v76, v48
	v_fmamk_f16 v76, v56, 0x3aee, v30
	v_fmac_f16_e32 v30, 0xbaee, v56
	v_fmamk_f16 v56, v75, 0xbaee, v86
	v_fmac_f16_e32 v100, 0xbaee, v79
	v_fmac_f16_e32 v86, 0x3aee, v75
	v_mul_f16_e32 v75, 0x3aee, v87
	v_add_f16_e32 v49, v49, v52
	v_mul_f16_e32 v52, 0xbaee, v57
	v_mul_f16_e32 v82, -0.5, v55
	v_add_f16_e32 v50, v50, v107
	v_add_f16_e32 v53, v85, v53
	v_mul_f16_e32 v79, -0.5, v100
	v_fmac_f16_e32 v75, 0.5, v57
	v_fmac_f16_e32 v52, 0.5, v87
	v_fmac_f16_e32 v82, 0xbaee, v100
	v_add_f16_e32 v87, v51, v49
	v_fmac_f16_e32 v79, 0x3aee, v55
	v_add_f16_e32 v55, v50, v53
	v_add_f16_e32 v57, v76, v75
	;; [unrolled: 1-line block ×4, first 2 shown]
	v_sub_f16_e32 v50, v50, v53
	v_add_f16_e32 v53, v22, v58
	v_sub_f16_e32 v75, v76, v75
	v_sub_f16_e32 v49, v51, v49
	v_add_f16_e32 v51, v6, v22
	v_sub_f16_e32 v52, v56, v52
	v_sub_f16_e32 v56, v86, v82
	v_add_f16_e32 v76, v89, v96
	v_add_f16_e32 v86, v23, v31
	v_fma_f16 v6, -0.5, v53, v6
	v_sub_f16_e32 v53, v89, v96
	v_add_f16_e32 v51, v51, v58
	v_add_f16_e32 v82, v92, v89
	v_fmac_f16_e32 v92, -0.5, v76
	v_sub_f16_e32 v22, v22, v58
	v_add_f16_e32 v58, v90, v97
	v_add_f16_e32 v76, v21, v23
	v_fmac_f16_e32 v21, -0.5, v86
	v_sub_f16_e32 v86, v90, v97
	v_add_f16_e32 v85, v30, v79
	v_sub_f16_e32 v30, v30, v79
	v_fmamk_f16 v79, v53, 0x3aee, v6
	v_add_f16_e32 v89, v88, v90
	v_fmac_f16_e32 v88, -0.5, v58
	v_sub_f16_e32 v23, v23, v31
	v_fmac_f16_e32 v6, 0xbaee, v53
	v_add_f16_e32 v53, v82, v96
	v_fmamk_f16 v82, v86, 0x3aee, v21
	v_fmac_f16_e32 v21, 0xbaee, v86
	v_fmamk_f16 v58, v22, 0xbaee, v92
	v_fmamk_f16 v90, v23, 0xbaee, v88
	v_fmac_f16_e32 v92, 0x3aee, v22
	v_add_f16_e32 v22, v76, v31
	v_fmac_f16_e32 v88, 0x3aee, v23
	v_mul_f16_e32 v31, -0.5, v21
	v_mul_f16_e32 v23, 0x3aee, v90
	v_add_f16_e32 v76, v89, v97
	v_mul_f16_e32 v86, 0xbaee, v82
	v_mul_f16_e32 v89, -0.5, v88
	v_fmac_f16_e32 v31, 0x3aee, v88
	v_fmac_f16_e32 v23, 0.5, v82
	v_lshrrev_b32_e32 v108, 16, v7
	v_fmac_f16_e32 v86, 0.5, v90
	v_fmac_f16_e32 v89, 0xbaee, v21
	v_add_f16_e32 v88, v6, v31
	v_add_f16_e32 v90, v53, v76
	v_sub_f16_e32 v6, v6, v31
	v_sub_f16_e32 v31, v53, v76
	v_add_f16_e32 v53, v7, v25
	v_add_f16_e32 v82, v51, v22
	;; [unrolled: 1-line block ×4, first 2 shown]
	v_sub_f16_e32 v22, v51, v22
	v_add_f16_e32 v51, v25, v62
	v_sub_f16_e32 v23, v79, v23
	v_sub_f16_e32 v76, v92, v89
	v_add_f16_e32 v79, v61, v65
	v_add_f16_e32 v53, v53, v62
	v_add_f16_e32 v89, v94, v66
	v_sub_f16_e32 v25, v25, v62
	v_add_f16_e32 v62, v63, v78
	v_fmac_f16_e32 v7, -0.5, v51
	v_sub_f16_e32 v51, v61, v65
	v_add_f16_e32 v61, v108, v61
	v_fmac_f16_e32 v108, -0.5, v79
	v_add_f16_e32 v79, v59, v94
	v_fmac_f16_e32 v59, -0.5, v89
	v_sub_f16_e32 v89, v63, v78
	v_add_f16_e32 v63, v24, v63
	v_fmac_f16_e32 v24, -0.5, v62
	v_sub_f16_e32 v62, v94, v66
	v_add_f16_e32 v96, v58, v86
	v_sub_f16_e32 v58, v58, v86
	v_fmamk_f16 v86, v51, 0x3aee, v7
	v_fmac_f16_e32 v7, 0xbaee, v51
	v_add_f16_e32 v51, v61, v65
	v_fmamk_f16 v65, v89, 0x3aee, v59
	v_fmamk_f16 v92, v62, 0xbaee, v24
	v_fmac_f16_e32 v59, 0xbaee, v89
	v_fmac_f16_e32 v24, 0x3aee, v62
	v_add_f16_e32 v63, v63, v78
	v_mul_f16_e32 v78, 0xbaee, v65
	v_mul_f16_e32 v62, 0x3aee, v92
	v_fmamk_f16 v61, v25, 0xbaee, v108
	v_fmac_f16_e32 v108, 0x3aee, v25
	v_add_f16_e32 v25, v79, v66
	v_mul_f16_e32 v66, -0.5, v59
	v_mul_f16_e32 v79, -0.5, v24
	v_fmac_f16_e32 v62, 0.5, v65
	v_fmac_f16_e32 v78, 0.5, v92
	v_add_f16_e32 v89, v51, v63
	v_sub_f16_e32 v51, v51, v63
	v_add_f16_e32 v63, v4, v67
	v_lshrrev_b32_e32 v18, 16, v4
	v_fmac_f16_e32 v66, 0x3aee, v24
	v_add_f16_e32 v24, v53, v25
	v_fmac_f16_e32 v79, 0xbaee, v59
	v_add_f16_e32 v59, v86, v62
	v_add_f16_e32 v92, v61, v78
	v_sub_f16_e32 v25, v53, v25
	v_add_f16_e32 v53, v67, v42
	v_sub_f16_e32 v62, v86, v62
	v_sub_f16_e32 v61, v61, v78
	v_add_f16_e32 v78, v40, v41
	v_add_f16_e32 v63, v63, v42
	;; [unrolled: 1-line block ×3, first 2 shown]
	v_sub_f16_e32 v42, v67, v42
	v_add_f16_e32 v67, v70, v43
	v_fma_f16 v4, -0.5, v53, v4
	v_sub_f16_e32 v53, v40, v41
	v_add_f16_e32 v40, v18, v40
	v_fmac_f16_e32 v18, -0.5, v78
	v_add_f16_e32 v78, v68, v72
	v_fmac_f16_e32 v68, -0.5, v86
	v_sub_f16_e32 v86, v70, v43
	v_add_f16_e32 v70, v91, v70
	v_fmac_f16_e32 v91, -0.5, v67
	v_sub_f16_e32 v67, v72, v64
	v_add_f16_e32 v65, v7, v66
	v_add_f16_e32 v94, v108, v79
	v_sub_f16_e32 v7, v7, v66
	v_sub_f16_e32 v66, v108, v79
	v_fmamk_f16 v79, v53, 0x3aee, v4
	v_fmac_f16_e32 v4, 0xbaee, v53
	v_fmamk_f16 v53, v86, 0x3aee, v68
	v_fmamk_f16 v72, v67, 0xbaee, v91
	v_fmac_f16_e32 v68, 0xbaee, v86
	v_fmac_f16_e32 v91, 0x3aee, v67
	v_add_f16_e32 v40, v40, v41
	v_fmamk_f16 v41, v42, 0xbaee, v18
	v_fmac_f16_e32 v18, 0x3aee, v42
	v_add_f16_e32 v42, v78, v64
	v_mul_f16_e32 v67, -0.5, v68
	v_mul_f16_e32 v78, -0.5, v91
	v_mul_f16_e32 v64, 0x3aee, v72
	v_add_f16_e32 v43, v70, v43
	v_mul_f16_e32 v70, 0xbaee, v53
	v_fmac_f16_e32 v67, 0x3aee, v91
	v_fmac_f16_e32 v78, 0xbaee, v68
	v_lshrrev_b32_e32 v17, 16, v5
	v_fmac_f16_e32 v64, 0.5, v53
	v_add_f16_e32 v53, v63, v42
	v_fmac_f16_e32 v70, 0.5, v72
	v_add_f16_e32 v72, v4, v67
	v_add_f16_e32 v86, v40, v43
	;; [unrolled: 1-line block ×3, first 2 shown]
	v_sub_f16_e32 v42, v63, v42
	v_add_f16_e32 v63, v60, v46
	v_sub_f16_e32 v4, v4, v67
	v_sub_f16_e32 v40, v40, v43
	v_add_f16_e32 v43, v5, v60
	v_sub_f16_e32 v18, v18, v78
	v_add_f16_e32 v67, v44, v26
	v_add_f16_e32 v78, v45, v47
	v_fmac_f16_e32 v5, -0.5, v63
	v_sub_f16_e32 v63, v44, v26
	v_add_f16_e32 v43, v43, v46
	v_add_f16_e32 v44, v17, v44
	v_fmac_f16_e32 v17, -0.5, v67
	;; [unrolled: 4-line block ×3, first 2 shown]
	v_sub_f16_e32 v78, v71, v73
	v_add_f16_e32 v71, v20, v71
	v_fmac_f16_e32 v20, -0.5, v60
	v_sub_f16_e32 v45, v45, v47
	v_add_f16_e32 v91, v41, v70
	v_fmamk_f16 v60, v78, 0x3aee, v19
	v_fmac_f16_e32 v19, 0xbaee, v78
	v_sub_f16_e32 v41, v41, v70
	v_fmamk_f16 v70, v63, 0x3aee, v5
	v_fmac_f16_e32 v5, 0xbaee, v63
	v_add_f16_e32 v26, v44, v26
	v_fmamk_f16 v44, v46, 0xbaee, v17
	v_fmamk_f16 v63, v45, 0xbaee, v20
	v_fmac_f16_e32 v17, 0x3aee, v46
	v_add_f16_e32 v46, v67, v47
	v_fmac_f16_e32 v20, 0x3aee, v45
	v_mul_f16_e32 v47, -0.5, v19
	v_mul_f16_e32 v45, 0x3aee, v63
	v_add_f16_e32 v67, v71, v73
	v_mul_f16_e32 v71, 0xbaee, v60
	v_mul_f16_e32 v73, -0.5, v20
	v_fmac_f16_e32 v47, 0x3aee, v20
	v_fmac_f16_e32 v45, 0.5, v60
	v_add_f16_e32 v20, v43, v46
	v_sub_f16_e32 v43, v43, v46
	v_pack_b32_f16 v46, v77, v81
	v_add_f16_e32 v60, v5, v47
	v_sub_f16_e32 v5, v5, v47
	v_pack_b32_f16 v47, v54, v83
	v_pack_b32_f16 v54, v80, v84
	;; [unrolled: 1-line block ×5, first 2 shown]
	ds_write2_b32 v32, v46, v47 offset1:60
	ds_write2_b32 v32, v54, v27 offset0:120 offset1:180
	ds_write2_b32 v37, v28, v29 offset0:112 offset1:172
	v_pack_b32_f16 v27, v55, v87
	v_pack_b32_f16 v28, v57, v93
	;; [unrolled: 1-line block ×8, first 2 shown]
	v_add_nc_u32_e32 v49, 0xa00, v14
	v_add_f16_e32 v68, v79, v64
	v_pack_b32_f16 v50, v88, v97
	v_pack_b32_f16 v22, v22, v31
	v_add_nc_u32_e32 v14, 0xc00, v14
	v_fmac_f16_e32 v71, 0.5, v63
	ds_write2_b32 v35, v27, v28 offset0:104 offset1:164
	ds_write2_b32 v8, v29, v46 offset0:96 offset1:156
	;; [unrolled: 1-line block ×5, first 2 shown]
	v_pack_b32_f16 v21, v23, v58
	v_pack_b32_f16 v6, v6, v76
	v_fmac_f16_e32 v73, 0xbaee, v19
	v_pack_b32_f16 v22, v24, v89
	v_pack_b32_f16 v23, v59, v92
	v_add_nc_u32_e32 v24, 0x1000, v13
	v_pack_b32_f16 v27, v65, v94
	v_pack_b32_f16 v25, v25, v51
	;; [unrolled: 1-line block ×4, first 2 shown]
	v_add_nc_u32_e32 v13, 0x1400, v13
	v_sub_f16_e32 v64, v79, v64
	v_pack_b32_f16 v29, v53, v86
	v_pack_b32_f16 v30, v68, v91
	v_add_nc_u32_e32 v31, 0x1400, v16
	v_add_f16_e32 v19, v70, v45
	v_add_f16_e32 v63, v26, v67
	;; [unrolled: 1-line block ×3, first 2 shown]
	ds_write2_b32 v14, v21, v6 offset0:192 offset1:252
	ds_write2_b32 v24, v22, v23 offset0:56 offset1:116
	;; [unrolled: 1-line block ×5, first 2 shown]
	v_lshl_add_u32 v14, v15, 2, 0
	v_add_f16_e32 v79, v17, v73
	v_sub_f16_e32 v26, v26, v67
	v_sub_f16_e32 v45, v70, v45
	;; [unrolled: 1-line block ×4, first 2 shown]
	v_pack_b32_f16 v6, v72, v98
	v_pack_b32_f16 v7, v42, v40
	v_add_nc_u32_e32 v13, 0x1800, v16
	v_pack_b32_f16 v15, v64, v41
	v_pack_b32_f16 v4, v4, v18
	;; [unrolled: 1-line block ×4, first 2 shown]
	v_add_nc_u32_e32 v19, 0x1c00, v14
	v_pack_b32_f16 v20, v60, v79
	v_pack_b32_f16 v21, v43, v26
	;; [unrolled: 1-line block ×4, first 2 shown]
	v_add_nc_u32_e32 v14, 0x1e00, v14
	ds_write2_b32 v13, v6, v7 offset0:24 offset1:84
	ds_write2_b32 v13, v15, v4 offset0:144 offset1:204
	;; [unrolled: 1-line block ×5, first 2 shown]
	s_waitcnt lgkmcnt(0)
	s_barrier
	buffer_gl0_inv
	global_load_dwordx4 v[16:19], v12, s[8:9] offset:1400
	v_mul_u32_u24_e32 v4, 5, v11
	v_lshlrev_b32_e32 v11, 2, v4
	global_load_dwordx4 v[20:23], v11, s[8:9] offset:1400
	v_add_co_u32 v6, s0, s8, v11
	v_add_co_ci_u32_e64 v7, null, s9, 0, s0
	v_add_co_u32 v4, s0, 0x4b0, v6
	v_add_co_ci_u32_e64 v5, s0, 0, v7, s0
	s_clause 0x2
	global_load_dwordx4 v[24:27], v[4:5], off offset:1400
	global_load_dword v14, v12, s[8:9] offset:1416
	global_load_dword v78, v11, s[8:9] offset:1416
	v_add_co_u32 v6, s0, 0x960, v6
	v_add_co_ci_u32_e64 v7, s0, 0, v7, s0
	s_clause 0x1
	global_load_dword v79, v[4:5], off offset:1416
	global_load_dwordx4 v[28:31], v[6:7], off offset:1400
	v_add_nc_u32_e32 v4, 0xe10, v11
	s_clause 0x1
	global_load_dword v80, v[6:7], off offset:1416
	global_load_dwordx4 v[40:43], v4, s[8:9] offset:1400
	v_add_nc_u32_e32 v5, 0x12c0, v11
	s_clause 0x2
	global_load_dword v81, v4, s[8:9] offset:1416
	global_load_dwordx4 v[44:47], v5, s[8:9] offset:1400
	global_load_dword v82, v5, s[8:9] offset:1416
	ds_read2_b32 v[48:49], v32 offset1:60
	ds_read2_b32 v[12:13], v38 offset0:56 offset1:116
	ds_read2_b32 v[50:51], v33 offset0:160 offset1:220
	;; [unrolled: 1-line block ×17, first 2 shown]
	s_waitcnt vmcnt(0) lgkmcnt(0)
	s_barrier
	buffer_gl0_inv
	v_lshrrev_b32_e32 v83, 16, v48
	v_lshrrev_b32_e32 v11, 16, v12
	;; [unrolled: 1-line block ×23, first 2 shown]
	v_mul_f16_sdwa v103, v16, v54 dst_sel:DWORD dst_unused:UNUSED_PAD src0_sel:WORD_1 src1_sel:DWORD
	v_mul_f16_sdwa v105, v17, v56 dst_sel:DWORD dst_unused:UNUSED_PAD src0_sel:WORD_1 src1_sel:DWORD
	v_mul_f16_sdwa v107, v12, v18 dst_sel:DWORD dst_unused:UNUSED_PAD src0_sel:DWORD src1_sel:WORD_1
	v_mul_f16_sdwa v106, v16, v102 dst_sel:DWORD dst_unused:UNUSED_PAD src0_sel:WORD_1 src1_sel:DWORD
	v_mul_f16_sdwa v108, v50, v19 dst_sel:DWORD dst_unused:UNUSED_PAD src0_sel:DWORD src1_sel:WORD_1
	v_fmac_f16_e32 v103, v16, v102
	v_mul_f16_sdwa v102, v17, v104 dst_sel:DWORD dst_unused:UNUSED_PAD src0_sel:WORD_1 src1_sel:DWORD
	v_fmac_f16_e32 v105, v17, v104
	v_mul_f16_sdwa v104, v11, v18 dst_sel:DWORD dst_unused:UNUSED_PAD src0_sel:DWORD src1_sel:WORD_1
	v_fmac_f16_e32 v107, v11, v18
	v_mul_f16_sdwa v11, v84, v19 dst_sel:DWORD dst_unused:UNUSED_PAD src0_sel:DWORD src1_sel:WORD_1
	v_fma_f16 v16, v16, v54, -v106
	v_fma_f16 v17, v17, v56, -v102
	v_mul_f16_sdwa v54, v55, v20 dst_sel:DWORD dst_unused:UNUSED_PAD src0_sel:DWORD src1_sel:WORD_1
	v_mul_f16_sdwa v56, v88, v21 dst_sel:DWORD dst_unused:UNUSED_PAD src0_sel:DWORD src1_sel:WORD_1
	v_fma_f16 v50, v50, v19, -v11
	v_mul_f16_sdwa v11, v87, v20 dst_sel:DWORD dst_unused:UNUSED_PAD src0_sel:DWORD src1_sel:WORD_1
	v_fma_f16 v18, v12, v18, -v104
	v_fmac_f16_e32 v54, v87, v20
	v_mul_f16_sdwa v104, v13, v22 dst_sel:DWORD dst_unused:UNUSED_PAD src0_sel:DWORD src1_sel:WORD_1
	v_fmac_f16_e32 v108, v84, v19
	v_fma_f16 v55, v55, v20, -v11
	v_mul_f16_sdwa v11, v89, v22 dst_sel:DWORD dst_unused:UNUSED_PAD src0_sel:DWORD src1_sel:WORD_1
	v_fma_f16 v20, v57, v21, -v56
	v_mul_f16_sdwa v56, v57, v21 dst_sel:DWORD dst_unused:UNUSED_PAD src0_sel:DWORD src1_sel:WORD_1
	v_mul_f16_sdwa v57, v90, v23 dst_sel:DWORD dst_unused:UNUSED_PAD src0_sel:DWORD src1_sel:WORD_1
	v_fmac_f16_e32 v104, v89, v22
	v_fma_f16 v102, v13, v22, -v11
	v_mul_f16_sdwa v22, v58, v24 dst_sel:DWORD dst_unused:UNUSED_PAD src0_sel:DWORD src1_sel:WORD_1
	v_fmac_f16_e32 v56, v88, v21
	v_fma_f16 v57, v51, v23, -v57
	v_mul_f16_sdwa v51, v51, v23 dst_sel:DWORD dst_unused:UNUSED_PAD src0_sel:DWORD src1_sel:WORD_1
	v_mul_f16_sdwa v88, v60, v25 dst_sel:DWORD dst_unused:UNUSED_PAD src0_sel:DWORD src1_sel:WORD_1
	v_fmac_f16_e32 v22, v93, v24
	v_mul_f16_sdwa v89, v62, v26 dst_sel:DWORD dst_unused:UNUSED_PAD src0_sel:DWORD src1_sel:WORD_1
	v_lshrrev_b32_e32 v19, 16, v67
	v_fmac_f16_e32 v51, v90, v23
	v_mul_f16_sdwa v23, v93, v24 dst_sel:DWORD dst_unused:UNUSED_PAD src0_sel:DWORD src1_sel:WORD_1
	v_mul_f16_sdwa v93, v64, v27 dst_sel:DWORD dst_unused:UNUSED_PAD src0_sel:DWORD src1_sel:WORD_1
	;; [unrolled: 1-line block ×3, first 2 shown]
	v_fmac_f16_e32 v88, v94, v25
	v_mul_f16_sdwa v94, v95, v26 dst_sel:DWORD dst_unused:UNUSED_PAD src0_sel:DWORD src1_sel:WORD_1
	v_fmac_f16_e32 v89, v95, v26
	v_mul_f16_sdwa v95, v96, v27 dst_sel:DWORD dst_unused:UNUSED_PAD src0_sel:DWORD src1_sel:WORD_1
	;; [unrolled: 2-line block ×3, first 2 shown]
	v_fma_f16 v23, v58, v24, -v23
	v_mul_f16_sdwa v58, v85, v14 dst_sel:DWORD dst_unused:UNUSED_PAD src0_sel:DWORD src1_sel:WORD_1
	v_fma_f16 v24, v60, v25, -v90
	v_fma_f16 v25, v62, v26, -v94
	v_mul_f16_sdwa v62, v91, v78 dst_sel:DWORD dst_unused:UNUSED_PAD src0_sel:DWORD src1_sel:WORD_1
	v_fmac_f16_e32 v96, v85, v14
	v_fma_f16 v52, v52, v14, -v58
	v_mul_f16_sdwa v14, v98, v28 dst_sel:DWORD dst_unused:UNUSED_PAD src0_sel:DWORD src1_sel:WORD_1
	v_mul_f16_sdwa v90, v59, v28 dst_sel:DWORD dst_unused:UNUSED_PAD src0_sel:DWORD src1_sel:WORD_1
	v_fma_f16 v26, v64, v27, -v95
	v_mul_f16_sdwa v64, v53, v78 dst_sel:DWORD dst_unused:UNUSED_PAD src0_sel:DWORD src1_sel:WORD_1
	v_fma_f16 v53, v53, v78, -v62
	v_mul_f16_sdwa v62, v66, v79 dst_sel:DWORD dst_unused:UNUSED_PAD src0_sel:DWORD src1_sel:WORD_1
	v_mul_f16_sdwa v85, v97, v79 dst_sel:DWORD dst_unused:UNUSED_PAD src0_sel:DWORD src1_sel:WORD_1
	v_fma_f16 v59, v59, v28, -v14
	v_mul_f16_sdwa v14, v99, v29 dst_sel:DWORD dst_unused:UNUSED_PAD src0_sel:DWORD src1_sel:WORD_1
	v_fmac_f16_e32 v90, v98, v28
	v_mul_f16_sdwa v28, v61, v29 dst_sel:DWORD dst_unused:UNUSED_PAD src0_sel:DWORD src1_sel:WORD_1
	v_lshrrev_b32_e32 v84, 16, v68
	v_fmac_f16_e32 v62, v97, v79
	v_fma_f16 v66, v66, v79, -v85
	v_fma_f16 v61, v61, v29, -v14
	v_mul_f16_sdwa v14, v100, v30 dst_sel:DWORD dst_unused:UNUSED_PAD src0_sel:DWORD src1_sel:WORD_1
	v_mul_f16_sdwa v79, v63, v30 dst_sel:DWORD dst_unused:UNUSED_PAD src0_sel:DWORD src1_sel:WORD_1
	;; [unrolled: 1-line block ×3, first 2 shown]
	v_fmac_f16_e32 v28, v99, v29
	v_mul_f16_sdwa v29, v65, v31 dst_sel:DWORD dst_unused:UNUSED_PAD src0_sel:DWORD src1_sel:WORD_1
	v_lshrrev_b32_e32 v87, 16, v70
	v_fma_f16 v63, v63, v30, -v14
	v_fmac_f16_e32 v79, v100, v30
	v_fma_f16 v30, v65, v31, -v85
	v_mul_f16_sdwa v14, v19, v80 dst_sel:DWORD dst_unused:UNUSED_PAD src0_sel:DWORD src1_sel:WORD_1
	v_fmac_f16_e32 v29, v101, v31
	v_mul_f16_sdwa v31, v67, v80 dst_sel:DWORD dst_unused:UNUSED_PAD src0_sel:DWORD src1_sel:WORD_1
	v_mul_f16_sdwa v65, v84, v40 dst_sel:DWORD dst_unused:UNUSED_PAD src0_sel:DWORD src1_sel:WORD_1
	;; [unrolled: 1-line block ×3, first 2 shown]
	v_lshrrev_b32_e32 v13, 16, v72
	v_lshrrev_b32_e32 v106, 16, v74
	v_fma_f16 v67, v67, v80, -v14
	v_mul_f16_sdwa v14, v87, v41 dst_sel:DWORD dst_unused:UNUSED_PAD src0_sel:DWORD src1_sel:WORD_1
	v_fmac_f16_e32 v31, v19, v80
	v_fma_f16 v19, v68, v40, -v65
	v_fmac_f16_e32 v85, v84, v40
	v_mul_f16_sdwa v40, v70, v41 dst_sel:DWORD dst_unused:UNUSED_PAD src0_sel:DWORD src1_sel:WORD_1
	v_lshrrev_b32_e32 v21, 16, v76
	v_lshrrev_b32_e32 v27, 16, v69
	v_fma_f16 v65, v70, v41, -v14
	v_mul_f16_sdwa v14, v13, v42 dst_sel:DWORD dst_unused:UNUSED_PAD src0_sel:DWORD src1_sel:WORD_1
	v_mul_f16_sdwa v68, v72, v42 dst_sel:DWORD dst_unused:UNUSED_PAD src0_sel:DWORD src1_sel:WORD_1
	;; [unrolled: 1-line block ×3, first 2 shown]
	v_fmac_f16_e32 v40, v87, v41
	v_mul_f16_sdwa v41, v74, v43 dst_sel:DWORD dst_unused:UNUSED_PAD src0_sel:DWORD src1_sel:WORD_1
	v_lshrrev_b32_e32 v60, 16, v71
	v_lshrrev_b32_e32 v58, 16, v73
	v_fmac_f16_e32 v64, v91, v78
	v_lshrrev_b32_e32 v78, 16, v75
	v_fma_f16 v72, v72, v42, -v14
	v_fmac_f16_e32 v68, v13, v42
	v_fma_f16 v42, v74, v43, -v70
	v_mul_f16_sdwa v13, v21, v81 dst_sel:DWORD dst_unused:UNUSED_PAD src0_sel:DWORD src1_sel:WORD_1
	v_fmac_f16_e32 v41, v106, v43
	v_mul_f16_sdwa v43, v76, v81 dst_sel:DWORD dst_unused:UNUSED_PAD src0_sel:DWORD src1_sel:WORD_1
	v_mul_f16_sdwa v70, v27, v44 dst_sel:DWORD dst_unused:UNUSED_PAD src0_sel:DWORD src1_sel:WORD_1
	;; [unrolled: 1-line block ×3, first 2 shown]
	v_fma_f16 v74, v76, v81, -v13
	v_mul_f16_sdwa v76, v60, v45 dst_sel:DWORD dst_unused:UNUSED_PAD src0_sel:DWORD src1_sel:WORD_1
	v_fmac_f16_e32 v43, v21, v81
	v_fma_f16 v13, v69, v44, -v70
	v_fmac_f16_e32 v14, v27, v44
	v_mul_f16_sdwa v21, v71, v45 dst_sel:DWORD dst_unused:UNUSED_PAD src0_sel:DWORD src1_sel:WORD_1
	v_mul_f16_sdwa v44, v58, v46 dst_sel:DWORD dst_unused:UNUSED_PAD src0_sel:DWORD src1_sel:WORD_1
	;; [unrolled: 1-line block ×4, first 2 shown]
	v_lshrrev_b32_e32 v91, 16, v77
	v_fma_f16 v27, v71, v45, -v76
	v_fmac_f16_e32 v21, v60, v45
	v_mul_f16_sdwa v45, v75, v47 dst_sel:DWORD dst_unused:UNUSED_PAD src0_sel:DWORD src1_sel:WORD_1
	v_fma_f16 v44, v73, v46, -v44
	v_fmac_f16_e32 v69, v58, v46
	v_fma_f16 v46, v75, v47, -v70
	v_add_f16_e32 v70, v48, v17
	v_add_f16_e32 v58, v17, v50
	v_fmac_f16_e32 v45, v78, v47
	v_mul_f16_sdwa v47, v91, v82 dst_sel:DWORD dst_unused:UNUSED_PAD src0_sel:DWORD src1_sel:WORD_1
	v_add_f16_e32 v71, v105, v108
	v_add_f16_e32 v70, v70, v50
	;; [unrolled: 1-line block ×3, first 2 shown]
	v_sub_f16_e32 v17, v17, v50
	v_add_f16_e32 v50, v107, v96
	v_mul_f16_sdwa v60, v77, v82 dst_sel:DWORD dst_unused:UNUSED_PAD src0_sel:DWORD src1_sel:WORD_1
	v_fma_f16 v47, v77, v82, -v47
	v_add_f16_e32 v75, v83, v105
	v_fmac_f16_e32 v83, -0.5, v71
	v_add_f16_e32 v71, v16, v18
	v_fmac_f16_e32 v16, -0.5, v76
	v_sub_f16_e32 v76, v107, v96
	v_add_f16_e32 v77, v103, v107
	v_fmac_f16_e32 v103, -0.5, v50
	v_sub_f16_e32 v18, v18, v52
	v_fma_f16 v48, -0.5, v58, v48
	v_sub_f16_e32 v58, v105, v108
	v_add_f16_e32 v50, v75, v108
	v_fmamk_f16 v75, v76, 0x3aee, v16
	v_fmamk_f16 v78, v18, 0xbaee, v103
	v_fmac_f16_e32 v16, 0xbaee, v76
	v_fmac_f16_e32 v103, 0x3aee, v18
	v_fmamk_f16 v73, v58, 0x3aee, v48
	v_fmac_f16_e32 v48, 0xbaee, v58
	v_fmamk_f16 v58, v17, 0xbaee, v83
	v_fmac_f16_e32 v83, 0x3aee, v17
	v_add_f16_e32 v17, v71, v52
	v_mul_f16_e32 v18, 0x3aee, v78
	v_mul_f16_e32 v52, -0.5, v16
	v_add_f16_e32 v71, v77, v96
	v_mul_f16_e32 v77, -0.5, v103
	v_mul_f16_e32 v76, 0xbaee, v75
	v_fmac_f16_e32 v18, 0.5, v75
	v_fmac_f16_e32 v52, 0x3aee, v103
	v_fmac_f16_e32 v60, v91, v82
	;; [unrolled: 1-line block ×3, first 2 shown]
	v_add_f16_e32 v75, v70, v17
	v_fmac_f16_e32 v76, 0.5, v78
	v_add_f16_e32 v16, v73, v18
	v_add_f16_e32 v78, v48, v52
	v_add_f16_e32 v80, v50, v71
	v_add_f16_e32 v82, v83, v77
	v_sub_f16_e32 v17, v70, v17
	v_add_f16_e32 v70, v20, v57
	v_sub_f16_e32 v18, v73, v18
	v_sub_f16_e32 v48, v48, v52
	;; [unrolled: 1-line block ×3, first 2 shown]
	v_add_f16_e32 v52, v49, v20
	v_sub_f16_e32 v71, v83, v77
	v_add_f16_e32 v73, v56, v51
	v_add_f16_e32 v77, v102, v53
	v_fmac_f16_e32 v49, -0.5, v70
	v_sub_f16_e32 v70, v56, v51
	v_add_f16_e32 v52, v52, v57
	v_add_f16_e32 v56, v86, v56
	v_fmac_f16_e32 v86, -0.5, v73
	;; [unrolled: 4-line block ×3, first 2 shown]
	v_sub_f16_e32 v77, v104, v64
	v_add_f16_e32 v81, v58, v76
	v_sub_f16_e32 v58, v58, v76
	v_fmamk_f16 v76, v70, 0x3aee, v49
	v_add_f16_e32 v83, v54, v104
	v_fmac_f16_e32 v54, -0.5, v57
	v_sub_f16_e32 v57, v102, v53
	v_fmac_f16_e32 v49, 0xbaee, v70
	v_fmamk_f16 v70, v77, 0x3aee, v55
	v_fmac_f16_e32 v55, 0xbaee, v77
	v_add_f16_e32 v51, v56, v51
	v_fmamk_f16 v84, v57, 0xbaee, v54
	v_fmac_f16_e32 v54, 0x3aee, v57
	v_fmamk_f16 v56, v20, 0xbaee, v86
	v_mul_f16_e32 v57, -0.5, v55
	v_fmac_f16_e32 v86, 0x3aee, v20
	v_add_f16_e32 v20, v73, v53
	v_mul_f16_e32 v53, 0x3aee, v84
	v_mul_f16_e32 v73, 0xbaee, v70
	v_mul_f16_e32 v77, -0.5, v54
	v_fmac_f16_e32 v57, 0x3aee, v54
	v_add_f16_e32 v64, v83, v64
	v_fmac_f16_e32 v53, 0.5, v70
	v_fmac_f16_e32 v73, 0.5, v84
	v_fmac_f16_e32 v77, 0xbaee, v55
	v_add_f16_e32 v70, v49, v57
	v_sub_f16_e32 v49, v49, v57
	v_add_f16_e32 v57, v6, v24
	v_add_f16_e32 v54, v52, v20
	;; [unrolled: 1-line block ×5, first 2 shown]
	v_sub_f16_e32 v20, v52, v20
	v_add_f16_e32 v52, v24, v26
	v_sub_f16_e32 v51, v51, v64
	v_sub_f16_e32 v56, v56, v73
	;; [unrolled: 1-line block ×3, first 2 shown]
	v_add_f16_e32 v73, v88, v93
	v_add_f16_e32 v57, v57, v26
	;; [unrolled: 1-line block ×3, first 2 shown]
	v_sub_f16_e32 v24, v24, v26
	v_add_f16_e32 v26, v89, v62
	v_fma_f16 v6, -0.5, v52, v6
	v_sub_f16_e32 v52, v88, v93
	v_add_f16_e32 v77, v92, v88
	v_fmac_f16_e32 v92, -0.5, v73
	v_add_f16_e32 v73, v23, v25
	v_fmac_f16_e32 v23, -0.5, v86
	v_sub_f16_e32 v86, v89, v62
	v_add_f16_e32 v88, v22, v89
	v_fmac_f16_e32 v22, -0.5, v26
	v_sub_f16_e32 v25, v25, v66
	v_add_f16_e32 v26, v77, v93
	v_fmamk_f16 v77, v86, 0x3aee, v23
	v_fmac_f16_e32 v23, 0xbaee, v86
	v_add_f16_e32 v55, v76, v53
	v_fmamk_f16 v89, v25, 0xbaee, v22
	v_fmac_f16_e32 v22, 0x3aee, v25
	v_sub_f16_e32 v53, v76, v53
	v_fmamk_f16 v76, v52, 0x3aee, v6
	v_fmac_f16_e32 v6, 0xbaee, v52
	v_fmamk_f16 v52, v24, 0xbaee, v92
	v_fmac_f16_e32 v92, 0x3aee, v24
	v_add_f16_e32 v24, v73, v66
	v_mul_f16_e32 v66, -0.5, v23
	v_add_f16_e32 v62, v88, v62
	v_mul_f16_e32 v73, 0xbaee, v77
	v_mul_f16_e32 v86, -0.5, v22
	v_mul_f16_e32 v25, 0x3aee, v89
	v_fmac_f16_e32 v66, 0x3aee, v22
	v_add_f16_e32 v88, v26, v62
	v_fmac_f16_e32 v73, 0.5, v89
	v_fmac_f16_e32 v86, 0xbaee, v23
	v_sub_f16_e32 v26, v26, v62
	v_add_f16_e32 v62, v7, v61
	v_fmac_f16_e32 v25, 0.5, v77
	v_add_f16_e32 v22, v57, v24
	v_add_f16_e32 v77, v6, v66
	;; [unrolled: 1-line block ×4, first 2 shown]
	v_sub_f16_e32 v24, v57, v24
	v_add_f16_e32 v57, v61, v30
	v_sub_f16_e32 v6, v6, v66
	v_sub_f16_e32 v52, v52, v73
	;; [unrolled: 1-line block ×3, first 2 shown]
	v_add_f16_e32 v73, v28, v29
	v_add_f16_e32 v62, v62, v30
	;; [unrolled: 1-line block ×3, first 2 shown]
	v_sub_f16_e32 v30, v61, v30
	v_add_f16_e32 v61, v79, v31
	v_fmac_f16_e32 v7, -0.5, v57
	v_sub_f16_e32 v57, v28, v29
	v_add_f16_e32 v28, v15, v28
	v_fmac_f16_e32 v15, -0.5, v73
	v_add_f16_e32 v73, v59, v63
	v_fmac_f16_e32 v59, -0.5, v86
	v_sub_f16_e32 v86, v79, v31
	v_add_f16_e32 v79, v90, v79
	v_fmac_f16_e32 v90, -0.5, v61
	v_sub_f16_e32 v61, v63, v67
	v_add_f16_e32 v23, v76, v25
	v_sub_f16_e32 v25, v76, v25
	v_fmamk_f16 v76, v57, 0x3aee, v7
	v_fmac_f16_e32 v7, 0xbaee, v57
	v_fmamk_f16 v57, v86, 0x3aee, v59
	v_fmamk_f16 v63, v61, 0xbaee, v90
	v_fmac_f16_e32 v59, 0xbaee, v86
	v_add_f16_e32 v28, v28, v29
	v_fmamk_f16 v29, v30, 0xbaee, v15
	v_fmac_f16_e32 v15, 0x3aee, v30
	v_add_f16_e32 v30, v73, v67
	v_fmac_f16_e32 v90, 0x3aee, v61
	v_mul_f16_e32 v61, 0x3aee, v63
	v_mul_f16_e32 v67, -0.5, v59
	v_add_f16_e32 v31, v79, v31
	v_mul_f16_e32 v73, 0xbaee, v57
	v_mul_f16_e32 v79, -0.5, v90
	v_fmac_f16_e32 v61, 0.5, v57
	v_fmac_f16_e32 v67, 0x3aee, v90
	v_add_f16_e32 v86, v28, v31
	v_sub_f16_e32 v28, v28, v31
	v_add_f16_e32 v31, v4, v65
	v_lshrrev_b32_e32 v12, 16, v4
	v_add_f16_e32 v57, v62, v30
	v_fmac_f16_e32 v73, 0.5, v63
	v_fmac_f16_e32 v79, 0xbaee, v59
	v_add_f16_e32 v59, v76, v61
	v_add_f16_e32 v63, v7, v67
	v_sub_f16_e32 v30, v62, v30
	v_add_f16_e32 v62, v65, v42
	v_sub_f16_e32 v61, v76, v61
	v_sub_f16_e32 v7, v7, v67
	v_add_f16_e32 v67, v40, v41
	v_add_f16_e32 v31, v31, v42
	;; [unrolled: 1-line block ×3, first 2 shown]
	v_sub_f16_e32 v42, v65, v42
	v_add_f16_e32 v65, v68, v43
	v_fma_f16 v4, -0.5, v62, v4
	v_sub_f16_e32 v62, v40, v41
	v_add_f16_e32 v40, v12, v40
	v_fmac_f16_e32 v12, -0.5, v67
	v_add_f16_e32 v67, v19, v72
	v_fmac_f16_e32 v19, -0.5, v76
	v_sub_f16_e32 v76, v68, v43
	v_add_f16_e32 v68, v85, v68
	v_fmac_f16_e32 v85, -0.5, v65
	v_sub_f16_e32 v65, v72, v74
	v_add_f16_e32 v90, v29, v73
	v_sub_f16_e32 v29, v29, v73
	v_fmamk_f16 v73, v62, 0x3aee, v4
	v_fmac_f16_e32 v4, 0xbaee, v62
	v_fmamk_f16 v62, v76, 0x3aee, v19
	v_fmamk_f16 v72, v65, 0xbaee, v85
	v_fmac_f16_e32 v19, 0xbaee, v76
	v_add_f16_e32 v40, v40, v41
	v_fmamk_f16 v41, v42, 0xbaee, v12
	v_fmac_f16_e32 v12, 0x3aee, v42
	v_add_f16_e32 v42, v67, v74
	v_fmac_f16_e32 v85, 0x3aee, v65
	v_mul_f16_e32 v65, 0x3aee, v72
	v_mul_f16_e32 v67, -0.5, v19
	v_add_f16_e32 v43, v68, v43
	v_mul_f16_e32 v68, 0xbaee, v62
	v_mul_f16_e32 v74, -0.5, v85
	v_fmac_f16_e32 v65, 0.5, v62
	v_fmac_f16_e32 v67, 0x3aee, v85
	v_add_f16_e32 v76, v40, v43
	v_sub_f16_e32 v40, v40, v43
	v_add_f16_e32 v43, v5, v27
	v_lshrrev_b32_e32 v11, 16, v5
	v_add_f16_e32 v62, v31, v42
	v_fmac_f16_e32 v68, 0.5, v72
	v_fmac_f16_e32 v74, 0xbaee, v19
	v_add_f16_e32 v19, v73, v65
	v_add_f16_e32 v72, v4, v67
	v_sub_f16_e32 v31, v31, v42
	v_add_f16_e32 v42, v27, v46
	v_sub_f16_e32 v65, v73, v65
	v_sub_f16_e32 v4, v4, v67
	v_add_f16_e32 v67, v21, v45
	v_add_f16_e32 v43, v43, v46
	;; [unrolled: 1-line block ×3, first 2 shown]
	v_sub_f16_e32 v27, v27, v46
	v_add_f16_e32 v46, v69, v60
	v_fmac_f16_e32 v5, -0.5, v42
	v_sub_f16_e32 v42, v21, v45
	v_add_f16_e32 v21, v11, v21
	v_fmac_f16_e32 v11, -0.5, v67
	v_add_f16_e32 v67, v13, v44
	v_fmac_f16_e32 v13, -0.5, v73
	v_sub_f16_e32 v73, v69, v60
	v_add_f16_e32 v69, v14, v69
	v_fmac_f16_e32 v14, -0.5, v46
	v_sub_f16_e32 v44, v44, v47
	v_add_f16_e32 v21, v21, v45
	v_fmamk_f16 v45, v73, 0x3aee, v13
	v_fmac_f16_e32 v13, 0xbaee, v73
	v_add_f16_e32 v92, v15, v79
	v_fmamk_f16 v46, v44, 0xbaee, v14
	v_sub_f16_e32 v15, v15, v79
	v_add_f16_e32 v79, v41, v68
	v_sub_f16_e32 v41, v41, v68
	v_fmamk_f16 v68, v42, 0x3aee, v5
	v_fmac_f16_e32 v5, 0xbaee, v42
	v_fmamk_f16 v42, v27, 0xbaee, v11
	v_fmac_f16_e32 v11, 0x3aee, v27
	v_add_f16_e32 v27, v67, v47
	v_fmac_f16_e32 v14, 0x3aee, v44
	v_mul_f16_e32 v44, 0x3aee, v46
	v_mul_f16_e32 v47, -0.5, v13
	v_add_f16_e32 v60, v69, v60
	v_mul_f16_e32 v67, 0xbaee, v45
	v_mul_f16_e32 v69, -0.5, v14
	v_fmac_f16_e32 v44, 0.5, v45
	v_fmac_f16_e32 v47, 0x3aee, v14
	v_add_f16_e32 v14, v43, v27
	v_sub_f16_e32 v27, v43, v27
	v_fmac_f16_e32 v69, 0xbaee, v13
	v_add_f16_e32 v13, v68, v44
	v_add_f16_e32 v45, v5, v47
	v_sub_f16_e32 v43, v68, v44
	v_sub_f16_e32 v5, v5, v47
	v_pack_b32_f16 v44, v75, v80
	v_pack_b32_f16 v47, v54, v83
	;; [unrolled: 1-line block ×6, first 2 shown]
	ds_write2_b32 v32, v44, v47 offset1:60
	v_pack_b32_f16 v44, v55, v84
	v_pack_b32_f16 v47, v70, v87
	;; [unrolled: 1-line block ×6, first 2 shown]
	ds_write2_b32 v35, v16, v44 offset0:104 offset1:164
	ds_write2_b32 v9, v54, v47 offset0:80 offset1:140
	;; [unrolled: 1-line block ×5, first 2 shown]
	v_pack_b32_f16 v9, v22, v88
	v_pack_b32_f16 v17, v57, v86
	v_fmac_f16_e32 v67, 0.5, v46
	v_add_f16_e32 v46, v21, v60
	v_pack_b32_f16 v16, v23, v89
	v_pack_b32_f16 v18, v77, v91
	ds_write2_b32 v32, v9, v17 offset0:120 offset1:180
	v_pack_b32_f16 v9, v59, v90
	v_pack_b32_f16 v17, v63, v92
	;; [unrolled: 1-line block ×8, first 2 shown]
	v_add_f16_e32 v73, v42, v67
	ds_write2_b32 v8, v16, v9 offset0:96 offset1:156
	ds_write2_b32 v1, v18, v17 offset0:72 offset1:132
	;; [unrolled: 1-line block ×5, first 2 shown]
	v_pack_b32_f16 v6, v62, v76
	v_pack_b32_f16 v8, v14, v46
	v_add_f16_e32 v85, v12, v74
	v_sub_f16_e32 v12, v12, v74
	v_add_f16_e32 v74, v11, v69
	v_sub_f16_e32 v21, v21, v60
	v_sub_f16_e32 v42, v42, v67
	;; [unrolled: 1-line block ×3, first 2 shown]
	v_pack_b32_f16 v7, v19, v79
	ds_write2_b32 v37, v6, v8 offset0:112 offset1:172
	v_pack_b32_f16 v6, v13, v73
	v_pack_b32_f16 v9, v72, v85
	;; [unrolled: 1-line block ×9, first 2 shown]
	ds_write2_b32 v36, v7, v6 offset0:88 offset1:148
	ds_write2_b32 v1, v9, v8 offset0:192 offset1:252
	;; [unrolled: 1-line block ×5, first 2 shown]
	s_waitcnt lgkmcnt(0)
	s_barrier
	buffer_gl0_inv
	s_and_saveexec_b32 s0, vcc_lo
	s_cbranch_execz .LBB0_21
; %bb.20:
	v_lshl_add_u32 v18, v0, 2, 0
	v_mov_b32_e32 v1, 0
	v_add_co_u32 v19, vcc_lo, s2, v2
	v_add_co_ci_u32_e32 v20, vcc_lo, s3, v3, vcc_lo
	ds_read2_b32 v[2:3], v18 offset1:60
	v_add_nc_u32_e32 v4, 60, v0
	v_mov_b32_e32 v5, v1
	ds_read2_b32 v[10:11], v18 offset0:120 offset1:180
	v_lshlrev_b64 v[6:7], 2, v[0:1]
	v_add_nc_u32_e32 v8, 0x78, v0
	v_mov_b32_e32 v9, v1
	v_lshlrev_b64 v[4:5], 2, v[4:5]
	v_add_nc_u32_e32 v12, 0xb4, v0
	v_mov_b32_e32 v13, v1
	v_add_co_u32 v6, vcc_lo, v19, v6
	v_lshlrev_b64 v[8:9], 2, v[8:9]
	v_add_co_ci_u32_e32 v7, vcc_lo, v20, v7, vcc_lo
	v_add_co_u32 v4, vcc_lo, v19, v4
	v_add_co_ci_u32_e32 v5, vcc_lo, v20, v5, vcc_lo
	v_add_co_u32 v8, vcc_lo, v19, v8
	v_add_co_ci_u32_e32 v9, vcc_lo, v20, v9, vcc_lo
	s_waitcnt lgkmcnt(1)
	global_store_dword v[6:7], v2, off
	global_store_dword v[4:5], v3, off
	s_waitcnt lgkmcnt(0)
	global_store_dword v[8:9], v10, off
	v_add_nc_u32_e32 v8, 0x200, v18
	v_add_nc_u32_e32 v10, 0x400, v18
	;; [unrolled: 1-line block ×3, first 2 shown]
	v_mov_b32_e32 v5, v1
	v_lshlrev_b64 v[2:3], 2, v[12:13]
	ds_read2_b32 v[8:9], v8 offset0:112 offset1:172
	v_add_nc_u32_e32 v6, 0x12c, v0
	v_mov_b32_e32 v7, v1
	ds_read2_b32 v[14:15], v10 offset0:104 offset1:164
	v_lshlrev_b64 v[4:5], 2, v[4:5]
	v_add_nc_u32_e32 v12, 0x168, v0
	v_add_co_u32 v2, vcc_lo, v19, v2
	v_lshlrev_b64 v[6:7], 2, v[6:7]
	v_add_co_ci_u32_e32 v3, vcc_lo, v20, v3, vcc_lo
	v_add_co_u32 v4, vcc_lo, v19, v4
	v_lshlrev_b64 v[12:13], 2, v[12:13]
	v_add_co_ci_u32_e32 v5, vcc_lo, v20, v5, vcc_lo
	v_add_co_u32 v6, vcc_lo, v19, v6
	v_add_co_ci_u32_e32 v7, vcc_lo, v20, v7, vcc_lo
	v_add_co_u32 v12, vcc_lo, v19, v12
	v_add_co_ci_u32_e32 v13, vcc_lo, v20, v13, vcc_lo
	v_add_nc_u32_e32 v16, 0x1a4, v0
	v_mov_b32_e32 v17, v1
	global_store_dword v[2:3], v11, off
	s_waitcnt lgkmcnt(1)
	global_store_dword v[4:5], v8, off
	global_store_dword v[6:7], v9, off
	s_waitcnt lgkmcnt(0)
	global_store_dword v[12:13], v14, off
	v_add_nc_u32_e32 v8, 0x600, v18
	v_add_nc_u32_e32 v11, 0x800, v18
	;; [unrolled: 1-line block ×3, first 2 shown]
	v_mov_b32_e32 v5, v1
	v_lshlrev_b64 v[2:3], 2, v[16:17]
	ds_read2_b32 v[8:9], v8 offset0:96 offset1:156
	v_add_nc_u32_e32 v6, 0x21c, v0
	v_mov_b32_e32 v7, v1
	ds_read2_b32 v[12:13], v11 offset0:88 offset1:148
	v_lshlrev_b64 v[4:5], 2, v[4:5]
	v_add_nc_u32_e32 v10, 0x258, v0
	v_mov_b32_e32 v11, v1
	v_add_co_u32 v2, vcc_lo, v19, v2
	v_lshlrev_b64 v[6:7], 2, v[6:7]
	v_add_co_ci_u32_e32 v3, vcc_lo, v20, v3, vcc_lo
	v_add_co_u32 v4, vcc_lo, v19, v4
	v_lshlrev_b64 v[10:11], 2, v[10:11]
	v_add_co_ci_u32_e32 v5, vcc_lo, v20, v5, vcc_lo
	v_add_co_u32 v6, vcc_lo, v19, v6
	v_add_co_ci_u32_e32 v7, vcc_lo, v20, v7, vcc_lo
	v_add_co_u32 v10, vcc_lo, v19, v10
	v_add_co_ci_u32_e32 v11, vcc_lo, v20, v11, vcc_lo
	v_add_nc_u32_e32 v16, 0x294, v0
	global_store_dword v[2:3], v15, off
	s_waitcnt lgkmcnt(1)
	global_store_dword v[4:5], v8, off
	global_store_dword v[6:7], v9, off
	s_waitcnt lgkmcnt(0)
	global_store_dword v[10:11], v12, off
	v_add_nc_u32_e32 v8, 0xa00, v18
	v_add_nc_u32_e32 v12, 0xc00, v18
	;; [unrolled: 1-line block ×3, first 2 shown]
	v_mov_b32_e32 v5, v1
	v_lshlrev_b64 v[2:3], 2, v[16:17]
	ds_read2_b32 v[8:9], v8 offset0:80 offset1:140
	v_add_nc_u32_e32 v6, 0x30c, v0
	v_mov_b32_e32 v7, v1
	ds_read2_b32 v[14:15], v12 offset0:72 offset1:132
	v_lshlrev_b64 v[4:5], 2, v[4:5]
	v_add_nc_u32_e32 v10, 0x348, v0
	v_mov_b32_e32 v11, v1
	v_add_co_u32 v2, vcc_lo, v19, v2
	v_lshlrev_b64 v[6:7], 2, v[6:7]
	v_add_co_ci_u32_e32 v3, vcc_lo, v20, v3, vcc_lo
	v_add_co_u32 v4, vcc_lo, v19, v4
	v_lshlrev_b64 v[10:11], 2, v[10:11]
	v_add_co_ci_u32_e32 v5, vcc_lo, v20, v5, vcc_lo
	v_add_co_u32 v6, vcc_lo, v19, v6
	v_add_co_ci_u32_e32 v7, vcc_lo, v20, v7, vcc_lo
	v_add_co_u32 v10, vcc_lo, v19, v10
	v_add_co_ci_u32_e32 v11, vcc_lo, v20, v11, vcc_lo
	v_add_nc_u32_e32 v16, 0x384, v0
	global_store_dword v[2:3], v13, off
	s_waitcnt lgkmcnt(1)
	global_store_dword v[4:5], v8, off
	global_store_dword v[6:7], v9, off
	s_waitcnt lgkmcnt(0)
	global_store_dword v[10:11], v14, off
	v_add_nc_u32_e32 v14, 0x1000, v18
	v_add_nc_u32_e32 v4, 0x3c0, v0
	v_mov_b32_e32 v5, v1
	v_lshlrev_b64 v[2:3], 2, v[16:17]
	ds_read2_b32 v[8:9], v12 offset0:192 offset1:252
	v_add_nc_u32_e32 v6, 0x3fc, v0
	v_mov_b32_e32 v7, v1
	ds_read2_b32 v[12:13], v14 offset0:56 offset1:116
	v_lshlrev_b64 v[4:5], 2, v[4:5]
	v_add_nc_u32_e32 v10, 0x438, v0
	v_mov_b32_e32 v11, v1
	v_add_co_u32 v2, vcc_lo, v19, v2
	v_lshlrev_b64 v[6:7], 2, v[6:7]
	v_add_co_ci_u32_e32 v3, vcc_lo, v20, v3, vcc_lo
	v_add_co_u32 v4, vcc_lo, v19, v4
	v_lshlrev_b64 v[10:11], 2, v[10:11]
	v_add_co_ci_u32_e32 v5, vcc_lo, v20, v5, vcc_lo
	v_add_co_u32 v6, vcc_lo, v19, v6
	v_add_co_ci_u32_e32 v7, vcc_lo, v20, v7, vcc_lo
	v_add_co_u32 v10, vcc_lo, v19, v10
	v_add_co_ci_u32_e32 v11, vcc_lo, v20, v11, vcc_lo
	v_add_nc_u32_e32 v16, 0x474, v0
	global_store_dword v[2:3], v15, off
	s_waitcnt lgkmcnt(1)
	global_store_dword v[4:5], v8, off
	global_store_dword v[6:7], v9, off
	s_waitcnt lgkmcnt(0)
	global_store_dword v[10:11], v12, off
	v_add_nc_u32_e32 v12, 0x1400, v18
	v_add_nc_u32_e32 v4, 0x4b0, v0
	;; [unrolled: 28-line block ×4, first 2 shown]
	v_mov_b32_e32 v5, v1
	v_lshlrev_b64 v[2:3], 2, v[16:17]
	ds_read2_b32 v[8:9], v14 offset0:144 offset1:204
	v_add_nc_u32_e32 v6, 0x6cc, v0
	v_mov_b32_e32 v7, v1
	ds_read2_b32 v[14:15], v12 offset0:8 offset1:68
	v_lshlrev_b64 v[4:5], 2, v[4:5]
	v_add_nc_u32_e32 v10, 0x708, v0
	v_mov_b32_e32 v11, v1
	v_add_co_u32 v2, vcc_lo, v19, v2
	v_lshlrev_b64 v[6:7], 2, v[6:7]
	v_add_co_ci_u32_e32 v3, vcc_lo, v20, v3, vcc_lo
	v_add_co_u32 v4, vcc_lo, v19, v4
	v_lshlrev_b64 v[10:11], 2, v[10:11]
	v_add_co_ci_u32_e32 v5, vcc_lo, v20, v5, vcc_lo
	v_add_co_u32 v6, vcc_lo, v19, v6
	v_add_co_ci_u32_e32 v7, vcc_lo, v20, v7, vcc_lo
	v_add_co_u32 v10, vcc_lo, v19, v10
	v_add_nc_u32_e32 v16, 0x744, v0
	v_add_co_ci_u32_e32 v11, vcc_lo, v20, v11, vcc_lo
	global_store_dword v[2:3], v13, off
	s_waitcnt lgkmcnt(1)
	global_store_dword v[4:5], v8, off
	global_store_dword v[6:7], v9, off
	s_waitcnt lgkmcnt(0)
	global_store_dword v[10:11], v14, off
	v_add_nc_u32_e32 v4, 0x780, v0
	v_mov_b32_e32 v5, v1
	ds_read2_b32 v[8:9], v12 offset0:128 offset1:188
	v_add_nc_u32_e32 v12, 0x1e00, v18
	v_lshlrev_b64 v[2:3], 2, v[16:17]
	v_add_nc_u32_e32 v6, 0x7bc, v0
	v_mov_b32_e32 v7, v1
	v_lshlrev_b64 v[4:5], 2, v[4:5]
	v_add_nc_u32_e32 v10, 0x7f8, v0
	v_mov_b32_e32 v11, v1
	ds_read2_b32 v[12:13], v12 offset0:120 offset1:180
	v_add_co_u32 v2, vcc_lo, v19, v2
	v_lshlrev_b64 v[6:7], 2, v[6:7]
	v_add_nc_u32_e32 v0, 0x834, v0
	v_add_co_ci_u32_e32 v3, vcc_lo, v20, v3, vcc_lo
	v_add_co_u32 v4, vcc_lo, v19, v4
	v_lshlrev_b64 v[10:11], 2, v[10:11]
	v_add_co_ci_u32_e32 v5, vcc_lo, v20, v5, vcc_lo
	v_add_co_u32 v6, vcc_lo, v19, v6
	v_lshlrev_b64 v[0:1], 2, v[0:1]
	v_add_co_ci_u32_e32 v7, vcc_lo, v20, v7, vcc_lo
	v_add_co_u32 v10, vcc_lo, v19, v10
	v_add_co_ci_u32_e32 v11, vcc_lo, v20, v11, vcc_lo
	v_add_co_u32 v0, vcc_lo, v19, v0
	v_add_co_ci_u32_e32 v1, vcc_lo, v20, v1, vcc_lo
	global_store_dword v[2:3], v15, off
	s_waitcnt lgkmcnt(1)
	global_store_dword v[4:5], v8, off
	global_store_dword v[6:7], v9, off
	s_waitcnt lgkmcnt(0)
	global_store_dword v[10:11], v12, off
	global_store_dword v[0:1], v13, off
.LBB0_21:
	s_endpgm
	.section	.rodata,"a",@progbits
	.p2align	6, 0x0
	.amdhsa_kernel fft_rtc_fwd_len2160_factors_10_6_6_6_wgs_60_tpt_60_halfLds_half_ip_CI_unitstride_sbrr_C2R_dirReg
		.amdhsa_group_segment_fixed_size 0
		.amdhsa_private_segment_fixed_size 0
		.amdhsa_kernarg_size 88
		.amdhsa_user_sgpr_count 6
		.amdhsa_user_sgpr_private_segment_buffer 1
		.amdhsa_user_sgpr_dispatch_ptr 0
		.amdhsa_user_sgpr_queue_ptr 0
		.amdhsa_user_sgpr_kernarg_segment_ptr 1
		.amdhsa_user_sgpr_dispatch_id 0
		.amdhsa_user_sgpr_flat_scratch_init 0
		.amdhsa_user_sgpr_private_segment_size 0
		.amdhsa_wavefront_size32 1
		.amdhsa_uses_dynamic_stack 0
		.amdhsa_system_sgpr_private_segment_wavefront_offset 0
		.amdhsa_system_sgpr_workgroup_id_x 1
		.amdhsa_system_sgpr_workgroup_id_y 0
		.amdhsa_system_sgpr_workgroup_id_z 0
		.amdhsa_system_sgpr_workgroup_info 0
		.amdhsa_system_vgpr_workitem_id 0
		.amdhsa_next_free_vgpr 114
		.amdhsa_next_free_sgpr 21
		.amdhsa_reserve_vcc 1
		.amdhsa_reserve_flat_scratch 0
		.amdhsa_float_round_mode_32 0
		.amdhsa_float_round_mode_16_64 0
		.amdhsa_float_denorm_mode_32 3
		.amdhsa_float_denorm_mode_16_64 3
		.amdhsa_dx10_clamp 1
		.amdhsa_ieee_mode 1
		.amdhsa_fp16_overflow 0
		.amdhsa_workgroup_processor_mode 1
		.amdhsa_memory_ordered 1
		.amdhsa_forward_progress 0
		.amdhsa_shared_vgpr_count 0
		.amdhsa_exception_fp_ieee_invalid_op 0
		.amdhsa_exception_fp_denorm_src 0
		.amdhsa_exception_fp_ieee_div_zero 0
		.amdhsa_exception_fp_ieee_overflow 0
		.amdhsa_exception_fp_ieee_underflow 0
		.amdhsa_exception_fp_ieee_inexact 0
		.amdhsa_exception_int_div_zero 0
	.end_amdhsa_kernel
	.text
.Lfunc_end0:
	.size	fft_rtc_fwd_len2160_factors_10_6_6_6_wgs_60_tpt_60_halfLds_half_ip_CI_unitstride_sbrr_C2R_dirReg, .Lfunc_end0-fft_rtc_fwd_len2160_factors_10_6_6_6_wgs_60_tpt_60_halfLds_half_ip_CI_unitstride_sbrr_C2R_dirReg
                                        ; -- End function
	.section	.AMDGPU.csdata,"",@progbits
; Kernel info:
; codeLenInByte = 21744
; NumSgprs: 23
; NumVgprs: 114
; ScratchSize: 0
; MemoryBound: 0
; FloatMode: 240
; IeeeMode: 1
; LDSByteSize: 0 bytes/workgroup (compile time only)
; SGPRBlocks: 2
; VGPRBlocks: 14
; NumSGPRsForWavesPerEU: 23
; NumVGPRsForWavesPerEU: 114
; Occupancy: 8
; WaveLimiterHint : 1
; COMPUTE_PGM_RSRC2:SCRATCH_EN: 0
; COMPUTE_PGM_RSRC2:USER_SGPR: 6
; COMPUTE_PGM_RSRC2:TRAP_HANDLER: 0
; COMPUTE_PGM_RSRC2:TGID_X_EN: 1
; COMPUTE_PGM_RSRC2:TGID_Y_EN: 0
; COMPUTE_PGM_RSRC2:TGID_Z_EN: 0
; COMPUTE_PGM_RSRC2:TIDIG_COMP_CNT: 0
	.text
	.p2alignl 6, 3214868480
	.fill 48, 4, 3214868480
	.type	__hip_cuid_c6e3891ac00b205d,@object ; @__hip_cuid_c6e3891ac00b205d
	.section	.bss,"aw",@nobits
	.globl	__hip_cuid_c6e3891ac00b205d
__hip_cuid_c6e3891ac00b205d:
	.byte	0                               ; 0x0
	.size	__hip_cuid_c6e3891ac00b205d, 1

	.ident	"AMD clang version 19.0.0git (https://github.com/RadeonOpenCompute/llvm-project roc-6.4.0 25133 c7fe45cf4b819c5991fe208aaa96edf142730f1d)"
	.section	".note.GNU-stack","",@progbits
	.addrsig
	.addrsig_sym __hip_cuid_c6e3891ac00b205d
	.amdgpu_metadata
---
amdhsa.kernels:
  - .args:
      - .actual_access:  read_only
        .address_space:  global
        .offset:         0
        .size:           8
        .value_kind:     global_buffer
      - .offset:         8
        .size:           8
        .value_kind:     by_value
      - .actual_access:  read_only
        .address_space:  global
        .offset:         16
        .size:           8
        .value_kind:     global_buffer
      - .actual_access:  read_only
        .address_space:  global
        .offset:         24
        .size:           8
        .value_kind:     global_buffer
      - .offset:         32
        .size:           8
        .value_kind:     by_value
      - .actual_access:  read_only
        .address_space:  global
        .offset:         40
        .size:           8
        .value_kind:     global_buffer
      - .actual_access:  read_only
        .address_space:  global
        .offset:         48
        .size:           8
        .value_kind:     global_buffer
      - .offset:         56
        .size:           4
        .value_kind:     by_value
      - .actual_access:  read_only
        .address_space:  global
        .offset:         64
        .size:           8
        .value_kind:     global_buffer
      - .actual_access:  read_only
        .address_space:  global
        .offset:         72
        .size:           8
        .value_kind:     global_buffer
      - .address_space:  global
        .offset:         80
        .size:           8
        .value_kind:     global_buffer
    .group_segment_fixed_size: 0
    .kernarg_segment_align: 8
    .kernarg_segment_size: 88
    .language:       OpenCL C
    .language_version:
      - 2
      - 0
    .max_flat_workgroup_size: 60
    .name:           fft_rtc_fwd_len2160_factors_10_6_6_6_wgs_60_tpt_60_halfLds_half_ip_CI_unitstride_sbrr_C2R_dirReg
    .private_segment_fixed_size: 0
    .sgpr_count:     23
    .sgpr_spill_count: 0
    .symbol:         fft_rtc_fwd_len2160_factors_10_6_6_6_wgs_60_tpt_60_halfLds_half_ip_CI_unitstride_sbrr_C2R_dirReg.kd
    .uniform_work_group_size: 1
    .uses_dynamic_stack: false
    .vgpr_count:     114
    .vgpr_spill_count: 0
    .wavefront_size: 32
    .workgroup_processor_mode: 1
amdhsa.target:   amdgcn-amd-amdhsa--gfx1030
amdhsa.version:
  - 1
  - 2
...

	.end_amdgpu_metadata
